;; amdgpu-corpus repo=ROCm/rocFFT kind=compiled arch=gfx1030 opt=O3
	.text
	.amdgcn_target "amdgcn-amd-amdhsa--gfx1030"
	.amdhsa_code_object_version 6
	.protected	bluestein_single_fwd_len2000_dim1_sp_op_CI_CI ; -- Begin function bluestein_single_fwd_len2000_dim1_sp_op_CI_CI
	.globl	bluestein_single_fwd_len2000_dim1_sp_op_CI_CI
	.p2align	8
	.type	bluestein_single_fwd_len2000_dim1_sp_op_CI_CI,@function
bluestein_single_fwd_len2000_dim1_sp_op_CI_CI: ; @bluestein_single_fwd_len2000_dim1_sp_op_CI_CI
; %bb.0:
	s_load_dwordx4 s[8:11], s[4:5], 0x28
	v_mul_u32_u24_e32 v1, 0x20d, v0
	v_mov_b32_e32 v139, 0
	s_mov_b32 s0, exec_lo
	v_lshrrev_b32_e32 v1, 16, v1
	v_add_nc_u32_e32 v138, s6, v1
	s_waitcnt lgkmcnt(0)
	v_cmpx_gt_u64_e64 s[8:9], v[138:139]
	s_cbranch_execz .LBB0_31
; %bb.1:
	s_clause 0x1
	s_load_dwordx4 s[0:3], s[4:5], 0x18
	s_load_dwordx2 s[6:7], s[4:5], 0x0
	v_mul_lo_u16 v1, 0x7d, v1
	v_sub_nc_u16 v40, v0, v1
	v_and_b32_e32 v182, 0xffff, v40
	v_lshlrev_b32_e32 v181, 3, v182
	s_waitcnt lgkmcnt(0)
	s_load_dwordx4 s[12:15], s[0:1], 0x0
	s_clause 0x2
	global_load_dwordx2 v[149:150], v181, s[6:7]
	global_load_dwordx2 v[141:142], v181, s[6:7] offset:1000
	global_load_dwordx2 v[130:131], v181, s[6:7] offset:2000
	v_add_co_u32 v104, s0, s6, v181
	v_add_co_ci_u32_e64 v105, null, s7, 0, s0
	v_add_nc_u32_e32 v41, 0x1c00, v181
	v_add_co_u32 v126, vcc_lo, 0x800, v104
	v_add_co_ci_u32_e32 v127, vcc_lo, 0, v105, vcc_lo
	v_add_co_u32 v124, vcc_lo, 0x1800, v104
	v_add_co_ci_u32_e32 v125, vcc_lo, 0, v105, vcc_lo
	;; [unrolled: 2-line block ×3, first 2 shown]
	s_waitcnt lgkmcnt(0)
	v_mad_u64_u32 v[0:1], null, s14, v138, 0
	v_mad_u64_u32 v[2:3], null, s12, v182, 0
	v_add_co_u32 v120, vcc_lo, 0x3000, v104
	v_add_co_ci_u32_e32 v121, vcc_lo, 0, v105, vcc_lo
	v_add_co_u32 v4, vcc_lo, 0x1000, v104
	v_mad_u64_u32 v[8:9], null, s15, v138, v[1:2]
	v_add_co_ci_u32_e32 v5, vcc_lo, 0, v105, vcc_lo
	v_mad_u64_u32 v[9:10], null, s13, v182, v[3:4]
	v_add_co_u32 v6, vcc_lo, 0x2800, v104
	v_mov_b32_e32 v1, v8
	v_add_co_ci_u32_e32 v7, vcc_lo, 0, v105, vcc_lo
	s_mul_i32 s1, s13, 0x190
	v_mov_b32_e32 v3, v9
	v_lshlrev_b64 v[0:1], 3, v[0:1]
	s_mul_hi_u32 s7, s12, 0x190
	s_mul_i32 s0, s12, 0x190
	s_add_i32 s1, s7, s1
	v_lshlrev_b64 v[2:3], 3, v[2:3]
	s_lshl_b64 s[14:15], s[0:1], 3
	v_add_co_u32 v0, vcc_lo, s10, v0
	v_add_co_ci_u32_e32 v1, vcc_lo, s11, v1, vcc_lo
	s_mul_hi_u32 s9, s12, 0xfffffa3d
	v_add_co_u32 v0, vcc_lo, v0, v2
	v_add_co_ci_u32_e32 v1, vcc_lo, v1, v3, vcc_lo
	s_mul_i32 s8, s13, 0xfffffa3d
	v_add_co_u32 v2, vcc_lo, v0, s14
	v_add_co_ci_u32_e32 v3, vcc_lo, s15, v1, vcc_lo
	s_sub_i32 s0, s9, s12
	v_add_co_u32 v8, vcc_lo, v2, s14
	v_add_co_ci_u32_e32 v9, vcc_lo, s15, v3, vcc_lo
	s_mul_i32 s6, s12, 0xfffffa3d
	v_add_co_u32 v10, vcc_lo, v8, s14
	v_add_co_ci_u32_e32 v11, vcc_lo, s15, v9, vcc_lo
	s_add_i32 s7, s0, s8
	v_add_co_u32 v12, vcc_lo, v10, s14
	v_add_co_ci_u32_e32 v13, vcc_lo, s15, v11, vcc_lo
	s_lshl_b64 s[0:1], s[6:7], 3
	s_clause 0x6
	global_load_dwordx2 v[159:160], v[126:127], off offset:1152
	global_load_dwordx2 v[157:158], v[124:125], off offset:256
	;; [unrolled: 1-line block ×7, first 2 shown]
	s_clause 0x1
	global_load_dwordx2 v[14:15], v[0:1], off
	global_load_dwordx2 v[2:3], v[2:3], off
	v_add_co_u32 v0, vcc_lo, v12, s0
	v_add_co_ci_u32_e32 v1, vcc_lo, s1, v13, vcc_lo
	s_clause 0x1
	global_load_dwordx2 v[151:152], v[4:5], off offset:104
	global_load_dwordx2 v[132:133], v[4:5], off offset:1104
	v_add_co_u32 v4, vcc_lo, v0, s14
	v_add_co_ci_u32_e32 v5, vcc_lo, s15, v1, vcc_lo
	s_clause 0x1
	global_load_dwordx2 v[8:9], v[8:9], off
	global_load_dwordx2 v[10:11], v[10:11], off
	v_add_co_u32 v16, vcc_lo, v4, s14
	v_add_co_ci_u32_e32 v17, vcc_lo, s15, v5, vcc_lo
	global_load_dwordx2 v[18:19], v[12:13], off
	v_add_co_u32 v12, vcc_lo, v16, s14
	v_add_co_ci_u32_e32 v13, vcc_lo, s15, v17, vcc_lo
	;; [unrolled: 3-line block ×6, first 2 shown]
	global_load_dwordx2 v[134:135], v[122:123], off offset:208
	global_load_dwordx2 v[28:29], v[0:1], off
	global_load_dwordx2 v[22:23], v[22:23], off
	;; [unrolled: 1-line block ×4, first 2 shown]
	v_add_co_u32 v12, vcc_lo, v12, s14
	v_add_co_ci_u32_e32 v13, vcc_lo, s15, v13, vcc_lo
	v_add_co_u32 v128, vcc_lo, 0x3800, v104
	v_add_co_ci_u32_e32 v129, vcc_lo, 0, v105, vcc_lo
	;; [unrolled: 2-line block ×3, first 2 shown]
	global_load_dwordx2 v[34:35], v[12:13], off
	s_clause 0x1
	global_load_dwordx2 v[139:140], v[6:7], off offset:1360
	global_load_dwordx2 v[143:144], v[128:129], off offset:464
	global_load_dwordx2 v[6:7], v[0:1], off
	s_load_dwordx2 s[6:7], s[4:5], 0x38
	s_load_dwordx4 s[8:11], s[2:3], 0x0
	v_add_nc_u32_e32 v12, 0x1000, v181
	v_add_nc_u32_e32 v16, 0x2800, v181
	v_cmp_gt_u16_e32 vcc_lo, 25, v40
	s_waitcnt vmcnt(19)
	v_mul_f32_e32 v13, v15, v150
	v_mul_f32_e32 v38, v14, v150
	s_waitcnt vmcnt(18)
	v_mul_f32_e32 v36, v3, v160
	v_mul_f32_e32 v17, v2, v160
	v_fmac_f32_e32 v13, v14, v149
	v_fma_f32 v14, v15, v149, -v38
	v_fmac_f32_e32 v36, v2, v159
	v_fma_f32 v37, v3, v159, -v17
	s_waitcnt vmcnt(15)
	v_mul_f32_e32 v2, v9, v158
	s_waitcnt vmcnt(14)
	v_mul_f32_e32 v38, v11, v156
	v_mul_f32_e32 v15, v10, v156
	;; [unrolled: 1-line block ×3, first 2 shown]
	ds_write_b64 v181, v[36:37] offset:3200
	v_fmac_f32_e32 v2, v8, v157
	v_fmac_f32_e32 v38, v10, v155
	v_fma_f32 v39, v11, v155, -v15
	v_fma_f32 v3, v9, v157, -v3
	s_waitcnt vmcnt(13)
	v_mul_f32_e32 v8, v19, v154
	v_mul_f32_e32 v9, v18, v154
	s_waitcnt vmcnt(12)
	v_mul_f32_e32 v10, v21, v142
	v_mul_f32_e32 v11, v20, v142
	ds_write_b64 v181, v[2:3] offset:6400
	v_fmac_f32_e32 v8, v18, v153
	v_fma_f32 v9, v19, v153, -v9
	v_fmac_f32_e32 v10, v20, v141
	v_fma_f32 v11, v21, v141, -v11
	ds_write_b64 v181, v[38:39] offset:9600
	ds_write_b64 v181, v[8:9] offset:12800
	s_waitcnt vmcnt(11)
	v_mul_f32_e32 v8, v25, v148
	v_mul_f32_e32 v9, v24, v148
	ds_write2_b64 v181, v[13:14], v[10:11] offset1:125
	v_fmac_f32_e32 v8, v24, v147
	s_waitcnt vmcnt(9)
	v_mul_f32_e32 v2, v5, v152
	v_mul_f32_e32 v3, v4, v152
	s_waitcnt vmcnt(7)
	v_mul_f32_e32 v15, v28, v137
	s_waitcnt vmcnt(6)
	v_mul_f32_e32 v13, v23, v131
	v_mul_f32_e32 v11, v22, v131
	s_waitcnt vmcnt(5)
	v_mul_f32_e32 v17, v31, v133
	v_mul_f32_e32 v18, v30, v133
	s_waitcnt vmcnt(4)
	v_mul_f32_e32 v19, v33, v135
	v_fmac_f32_e32 v13, v22, v130
	v_fma_f32 v14, v23, v130, -v11
	v_fmac_f32_e32 v2, v4, v151
	v_mul_f32_e32 v4, v27, v146
	v_fma_f32 v3, v5, v151, -v3
	v_mul_f32_e32 v5, v26, v146
	ds_write_b64 v181, v[13:14] offset:2000
	v_mul_f32_e32 v14, v32, v135
	v_fma_f32 v11, v29, v136, -v15
	s_waitcnt vmcnt(2)
	v_mul_f32_e32 v13, v35, v140
	v_mul_f32_e32 v15, v34, v140
	;; [unrolled: 1-line block ×3, first 2 shown]
	s_waitcnt vmcnt(0)
	v_mul_f32_e32 v21, v7, v144
	v_mul_f32_e32 v22, v6, v144
	v_fmac_f32_e32 v17, v30, v132
	v_fma_f32 v18, v31, v132, -v18
	v_fma_f32 v9, v25, v147, -v9
	v_fmac_f32_e32 v19, v32, v134
	v_fma_f32 v20, v33, v134, -v14
	v_fmac_f32_e32 v4, v26, v145
	v_fma_f32 v5, v27, v145, -v5
	v_fmac_f32_e32 v13, v34, v139
	v_fma_f32 v14, v35, v139, -v15
	v_fmac_f32_e32 v10, v28, v136
	v_fmac_f32_e32 v21, v6, v143
	v_fma_f32 v22, v7, v143, -v22
	v_add_nc_u32_e32 v6, 0x3400, v181
	ds_write2_b64 v12, v[2:3], v[17:18] offset0:13 offset1:138
	ds_write2_b64 v41, v[8:9], v[19:20] offset0:29 offset1:154
	;; [unrolled: 1-line block ×4, first 2 shown]
	s_and_saveexec_b32 s2, vcc_lo
	s_cbranch_execz .LBB0_3
; %bb.2:
	v_add_co_u32 v0, s0, v0, s0
	v_add_co_ci_u32_e64 v1, s0, s1, v1, s0
	v_add_co_u32 v2, s0, v0, s14
	v_add_co_ci_u32_e64 v3, s0, s15, v1, s0
	;; [unrolled: 2-line block ×3, first 2 shown]
	global_load_dwordx2 v[0:1], v[0:1], off
	global_load_dwordx2 v[2:3], v[2:3], off
	s_clause 0x1
	global_load_dwordx2 v[6:7], v[126:127], off offset:952
	global_load_dwordx2 v[8:9], v[124:125], off offset:56
	global_load_dwordx2 v[10:11], v[4:5], off
	v_add_co_u32 v4, s0, v4, s14
	v_add_co_ci_u32_e64 v5, s0, s15, v5, s0
	global_load_dwordx2 v[13:14], v[122:123], off offset:1208
	v_add_co_u32 v17, s0, v4, s14
	v_add_co_ci_u32_e64 v18, s0, s15, v5, s0
	global_load_dwordx2 v[4:5], v[4:5], off
	s_clause 0x1
	global_load_dwordx2 v[19:20], v[120:121], off offset:312
	global_load_dwordx2 v[21:22], v[128:129], off offset:1464
	global_load_dwordx2 v[17:18], v[17:18], off
	s_waitcnt vmcnt(7)
	v_mul_f32_e32 v23, v1, v7
	v_mul_f32_e32 v15, v0, v7
	s_waitcnt vmcnt(6)
	v_mul_f32_e32 v7, v3, v9
	v_mul_f32_e32 v9, v2, v9
	v_fmac_f32_e32 v23, v0, v6
	v_fma_f32 v24, v1, v6, -v15
	s_waitcnt vmcnt(4)
	v_mul_f32_e32 v0, v11, v14
	v_mul_f32_e32 v1, v10, v14
	v_fmac_f32_e32 v7, v2, v8
	v_fma_f32 v8, v3, v8, -v9
	s_waitcnt vmcnt(2)
	v_mul_f32_e32 v2, v5, v20
	v_mul_f32_e32 v3, v4, v20
	s_waitcnt vmcnt(0)
	v_mul_f32_e32 v9, v18, v22
	v_mul_f32_e32 v6, v17, v22
	v_fmac_f32_e32 v0, v10, v13
	v_fma_f32 v1, v11, v13, -v1
	v_fmac_f32_e32 v2, v4, v19
	v_fma_f32 v3, v5, v19, -v3
	;; [unrolled: 2-line block ×3, first 2 shown]
	ds_write_b64 v181, v[23:24] offset:3000
	ds_write_b64 v181, v[7:8] offset:6200
	;; [unrolled: 1-line block ×5, first 2 shown]
.LBB0_3:
	s_or_b32 exec_lo, exec_lo, s2
	v_add_nc_u32_e32 v4, 0x600, v181
	v_add_nc_u32_e32 v8, 0x1800, v181
	;; [unrolled: 1-line block ×4, first 2 shown]
	s_waitcnt lgkmcnt(0)
	s_barrier
	buffer_gl0_inv
	ds_read2_b64 v[0:3], v181 offset1:125
	ds_read2_b64 v[4:7], v4 offset0:58 offset1:208
	ds_read2_b64 v[20:23], v8 offset0:32 offset1:157
	;; [unrolled: 1-line block ×6, first 2 shown]
	ds_read_b64 v[36:37], v181 offset:14800
                                        ; implicit-def: $vgpr60
                                        ; implicit-def: $vgpr28
                                        ; implicit-def: $vgpr30
                                        ; implicit-def: $vgpr32
                                        ; implicit-def: $vgpr34
	s_and_saveexec_b32 s0, vcc_lo
	s_cbranch_execz .LBB0_5
; %bb.4:
	ds_read_b64 v[60:61], v181 offset:3000
	ds_read_b64 v[28:29], v181 offset:6200
	;; [unrolled: 1-line block ×5, first 2 shown]
.LBB0_5:
	s_or_b32 exec_lo, exec_lo, s0
	s_waitcnt lgkmcnt(4)
	v_add_f32_e32 v38, v20, v10
	v_add_f32_e32 v39, v0, v6
	s_waitcnt lgkmcnt(3)
	v_sub_f32_e32 v41, v7, v25
	v_add_f32_e32 v45, v6, v24
	v_add_co_u32 v108, s2, 0x7d, v182
	v_fma_f32 v38, -0.5, v38, v0
	v_add_f32_e32 v39, v39, v20
	v_add_co_ci_u32_e64 v40, null, 0, 0, s2
	v_sub_f32_e32 v43, v21, v11
	v_fmamk_f32 v40, v41, 0x3f737871, v38
	v_sub_f32_e32 v42, v6, v20
	v_sub_f32_e32 v44, v24, v10
	v_add_f32_e32 v39, v39, v10
	v_fma_f32 v0, -0.5, v45, v0
	v_fmac_f32_e32 v38, 0xbf737871, v41
	v_add_f32_e32 v47, v1, v7
	v_add_co_u32 v106, s2, 0xfa, v182
	v_add_co_ci_u32_e64 v46, null, 0, 0, s2
	v_fmac_f32_e32 v40, 0x3f167918, v43
	v_add_f32_e32 v46, v42, v44
	v_add_f32_e32 v42, v39, v24
	v_fmamk_f32 v44, v43, 0xbf737871, v0
	v_sub_f32_e32 v39, v20, v6
	v_sub_f32_e32 v45, v10, v24
	v_fmac_f32_e32 v38, 0xbf167918, v43
	v_add_f32_e32 v48, v21, v11
	v_fmac_f32_e32 v0, 0x3f737871, v43
	v_add_f32_e32 v43, v47, v21
	v_add_f32_e32 v45, v39, v45
	v_sub_f32_e32 v24, v6, v24
	v_fma_f32 v39, -0.5, v48, v1
	v_fmac_f32_e32 v40, 0x3e9e377a, v46
	v_add_f32_e32 v6, v43, v11
	v_add_f32_e32 v43, v7, v25
	v_fmac_f32_e32 v44, 0x3f167918, v41
	v_fmac_f32_e32 v38, 0x3e9e377a, v46
	;; [unrolled: 1-line block ×3, first 2 shown]
	v_fmamk_f32 v41, v24, 0xbf737871, v39
	v_sub_f32_e32 v10, v20, v10
	v_sub_f32_e32 v20, v7, v21
	;; [unrolled: 1-line block ×3, first 2 shown]
	v_fma_f32 v1, -0.5, v43, v1
	v_add_f32_e32 v43, v6, v25
	v_fmac_f32_e32 v39, 0x3f737871, v24
	v_sub_f32_e32 v6, v21, v7
	v_sub_f32_e32 v7, v11, v25
	s_waitcnt lgkmcnt(1)
	v_add_f32_e32 v11, v22, v16
	v_fmac_f32_e32 v44, 0x3e9e377a, v45
	v_fmac_f32_e32 v0, 0x3e9e377a, v45
	;; [unrolled: 1-line block ×3, first 2 shown]
	v_add_f32_e32 v20, v20, v46
	v_fmamk_f32 v45, v10, 0x3f737871, v1
	v_fmac_f32_e32 v39, 0x3f167918, v10
	v_add_f32_e32 v7, v6, v7
	v_add_f32_e32 v21, v2, v12
	v_fma_f32 v6, -0.5, v11, v2
	v_sub_f32_e32 v11, v13, v27
	v_fmac_f32_e32 v1, 0xbf737871, v10
	v_add_f32_e32 v47, v12, v26
	v_fmac_f32_e32 v41, 0x3e9e377a, v20
	v_fmac_f32_e32 v45, 0xbf167918, v24
	;; [unrolled: 1-line block ×3, first 2 shown]
	v_add_f32_e32 v20, v21, v22
	v_fmamk_f32 v10, v11, 0x3f737871, v6
	v_sub_f32_e32 v21, v23, v17
	v_sub_f32_e32 v25, v12, v22
	;; [unrolled: 1-line block ×3, first 2 shown]
	v_fmac_f32_e32 v1, 0x3f167918, v24
	v_fma_f32 v2, -0.5, v47, v2
	v_fmac_f32_e32 v6, 0xbf737871, v11
	v_add_f32_e32 v47, v3, v13
	v_fmac_f32_e32 v45, 0x3e9e377a, v7
	v_add_f32_e32 v20, v20, v16
	;; [unrolled: 2-line block ×3, first 2 shown]
	v_fmac_f32_e32 v1, 0x3e9e377a, v7
	v_fmamk_f32 v24, v21, 0xbf737871, v2
	v_sub_f32_e32 v7, v22, v12
	v_sub_f32_e32 v46, v16, v26
	v_fmac_f32_e32 v6, 0xbf167918, v21
	v_add_f32_e32 v48, v23, v17
	v_fmac_f32_e32 v2, 0x3f737871, v21
	v_add_f32_e32 v21, v47, v23
	v_add_f32_e32 v20, v20, v26
	;; [unrolled: 1-line block ×3, first 2 shown]
	v_fma_f32 v7, -0.5, v48, v3
	v_sub_f32_e32 v26, v12, v26
	v_add_f32_e32 v12, v21, v17
	v_add_f32_e32 v21, v13, v27
	v_fmac_f32_e32 v10, 0x3e9e377a, v25
	v_fmac_f32_e32 v24, 0x3f167918, v11
	;; [unrolled: 1-line block ×4, first 2 shown]
	v_fmamk_f32 v11, v26, 0xbf737871, v7
	v_sub_f32_e32 v16, v22, v16
	v_sub_f32_e32 v22, v13, v23
	;; [unrolled: 1-line block ×3, first 2 shown]
	v_fmac_f32_e32 v3, -0.5, v21
	v_add_f32_e32 v21, v12, v27
	v_fmac_f32_e32 v7, 0x3f737871, v26
	v_sub_f32_e32 v12, v23, v13
	v_sub_f32_e32 v13, v17, v27
	v_add_f32_e32 v17, v8, v18
	v_fmac_f32_e32 v11, 0xbf167918, v16
	v_add_f32_e32 v22, v22, v25
	v_fmamk_f32 v25, v16, 0x3f737871, v3
	v_fmac_f32_e32 v7, 0x3f167918, v16
	v_add_f32_e32 v13, v12, v13
	v_add_f32_e32 v23, v4, v14
	v_fma_f32 v12, -0.5, v17, v4
	s_waitcnt lgkmcnt(0)
	v_sub_f32_e32 v17, v15, v37
	v_fmac_f32_e32 v3, 0xbf737871, v16
	v_fmac_f32_e32 v24, 0x3e9e377a, v46
	;; [unrolled: 1-line block ×6, first 2 shown]
	v_add_f32_e32 v22, v23, v8
	v_fmamk_f32 v16, v17, 0x3f737871, v12
	v_sub_f32_e32 v23, v9, v19
	v_sub_f32_e32 v27, v14, v8
	;; [unrolled: 1-line block ×3, first 2 shown]
	v_add_f32_e32 v47, v14, v36
	v_fmac_f32_e32 v3, 0x3f167918, v26
	v_fmac_f32_e32 v12, 0xbf737871, v17
	;; [unrolled: 1-line block ×4, first 2 shown]
	v_add_f32_e32 v27, v27, v46
	v_fma_f32 v4, -0.5, v47, v4
	v_fmac_f32_e32 v3, 0x3e9e377a, v13
	v_sub_f32_e32 v13, v8, v14
	v_sub_f32_e32 v46, v18, v36
	v_fmac_f32_e32 v12, 0xbf167918, v23
	v_add_f32_e32 v47, v5, v15
	v_add_f32_e32 v48, v9, v19
	v_add_f32_e32 v22, v22, v18
	v_fmac_f32_e32 v16, 0x3e9e377a, v27
	v_fmamk_f32 v26, v23, 0xbf737871, v4
	v_add_f32_e32 v46, v13, v46
	v_fmac_f32_e32 v4, 0x3f737871, v23
	v_add_f32_e32 v23, v47, v9
	v_fma_f32 v13, -0.5, v48, v5
	v_sub_f32_e32 v14, v14, v36
	v_fmac_f32_e32 v12, 0x3e9e377a, v27
	v_add_f32_e32 v27, v15, v37
	v_sub_f32_e32 v8, v8, v18
	v_sub_f32_e32 v18, v15, v9
	;; [unrolled: 1-line block ×4, first 2 shown]
	v_add_f32_e32 v22, v22, v36
	v_fmac_f32_e32 v26, 0x3f167918, v17
	v_fmac_f32_e32 v4, 0xbf167918, v17
	v_add_f32_e32 v23, v23, v19
	v_fmamk_f32 v17, v14, 0xbf737871, v13
	v_sub_f32_e32 v36, v37, v19
	v_fmac_f32_e32 v5, -0.5, v27
	v_fmac_f32_e32 v13, 0x3f737871, v14
	v_add_f32_e32 v19, v30, v32
	v_add_f32_e32 v9, v9, v15
	;; [unrolled: 1-line block ×3, first 2 shown]
	v_fmac_f32_e32 v17, 0xbf167918, v8
	v_add_f32_e32 v18, v18, v36
	v_fmamk_f32 v27, v8, 0x3f737871, v5
	v_fmac_f32_e32 v13, 0x3f167918, v8
	v_fma_f32 v62, -0.5, v19, v60
	v_sub_f32_e32 v19, v29, v35
	v_fmac_f32_e32 v5, 0xbf737871, v8
	v_add_f32_e32 v8, v15, v30
	v_add_f32_e32 v23, v23, v37
	v_fmac_f32_e32 v17, 0x3e9e377a, v18
	v_fmac_f32_e32 v27, 0xbf167918, v14
	;; [unrolled: 1-line block ×3, first 2 shown]
	v_fmamk_f32 v64, v19, 0x3f737871, v62
	v_sub_f32_e32 v15, v31, v33
	v_sub_f32_e32 v18, v28, v30
	;; [unrolled: 1-line block ×3, first 2 shown]
	v_add_f32_e32 v37, v28, v34
	v_fmac_f32_e32 v5, 0x3f167918, v14
	v_add_f32_e32 v8, v8, v32
	v_fmac_f32_e32 v62, 0xbf737871, v19
	v_fmac_f32_e32 v27, 0x3e9e377a, v9
	;; [unrolled: 1-line block ×3, first 2 shown]
	v_add_f32_e32 v14, v18, v36
	v_fmac_f32_e32 v60, -0.5, v37
	v_fmac_f32_e32 v5, 0x3e9e377a, v9
	v_add_f32_e32 v92, v8, v34
	v_sub_f32_e32 v8, v30, v28
	v_sub_f32_e32 v9, v32, v34
	v_fmac_f32_e32 v62, 0xbf167918, v15
	v_add_f32_e32 v18, v61, v29
	v_add_f32_e32 v36, v31, v33
	v_fmac_f32_e32 v64, 0x3e9e377a, v14
	v_fmamk_f32 v66, v15, 0xbf737871, v60
	v_add_f32_e32 v8, v8, v9
	v_fmac_f32_e32 v60, 0x3f737871, v15
	v_add_f32_e32 v9, v18, v31
	v_fma_f32 v63, -0.5, v36, v61
	v_sub_f32_e32 v15, v28, v34
	v_fmac_f32_e32 v62, 0x3e9e377a, v14
	v_add_f32_e32 v14, v29, v35
	v_fmac_f32_e32 v66, 0x3f167918, v19
	v_fmac_f32_e32 v60, 0xbf167918, v19
	v_add_f32_e32 v9, v9, v33
	v_fmamk_f32 v65, v15, 0xbf737871, v63
	v_sub_f32_e32 v18, v30, v32
	v_sub_f32_e32 v19, v29, v31
	;; [unrolled: 1-line block ×3, first 2 shown]
	v_fmac_f32_e32 v61, -0.5, v14
	v_fmac_f32_e32 v63, 0x3f737871, v15
	s_load_dwordx2 s[0:1], s[4:5], 0x8
	v_fmac_f32_e32 v66, 0x3e9e377a, v8
	v_fmac_f32_e32 v60, 0x3e9e377a, v8
	v_add_f32_e32 v93, v9, v35
	v_fmac_f32_e32 v65, 0xbf167918, v18
	v_add_f32_e32 v8, v19, v28
	v_fmamk_f32 v67, v18, 0x3f737871, v61
	v_sub_f32_e32 v9, v31, v29
	v_sub_f32_e32 v14, v33, v35
	v_fmac_f32_e32 v61, 0xbf737871, v18
	v_fmac_f32_e32 v63, 0x3f167918, v18
	v_fmac_f32_e32 v65, 0x3e9e377a, v8
	v_fmac_f32_e32 v67, 0xbf167918, v15
	v_add_f32_e32 v9, v9, v14
	v_fmac_f32_e32 v61, 0x3f167918, v15
	v_fmac_f32_e32 v63, 0x3e9e377a, v8
	v_mul_lo_u16 v8, v182, 5
	v_mov_b32_e32 v14, 3
	v_add_co_u32 v107, null, 0x177, v182
	v_fmac_f32_e32 v67, 0x3e9e377a, v9
	v_fmac_f32_e32 v61, 0x3e9e377a, v9
	v_mul_u32_u24_e32 v9, 5, v108
	v_lshlrev_b32_sdwa v190, v14, v8 dst_sel:DWORD dst_unused:UNUSED_PAD src0_sel:DWORD src1_sel:WORD_0
	v_mul_u32_u24_e32 v8, 5, v106
	v_mul_u32_u24_e32 v191, 5, v107
	v_fmac_f32_e32 v26, 0x3e9e377a, v46
	v_lshlrev_b32_e32 v188, 3, v9
	v_fmac_f32_e32 v4, 0x3e9e377a, v46
	v_lshlrev_b32_e32 v189, 3, v8
	s_waitcnt lgkmcnt(0)
	s_barrier
	buffer_gl0_inv
	ds_write2_b64 v190, v[42:43], v[40:41] offset1:1
	ds_write2_b64 v190, v[44:45], v[0:1] offset0:2 offset1:3
	ds_write_b64 v190, v[38:39] offset:32
	ds_write2_b64 v188, v[20:21], v[10:11] offset1:1
	ds_write2_b64 v188, v[24:25], v[2:3] offset0:2 offset1:3
	ds_write_b64 v188, v[6:7] offset:32
	;; [unrolled: 3-line block ×3, first 2 shown]
	s_and_saveexec_b32 s2, vcc_lo
	s_cbranch_execz .LBB0_7
; %bb.6:
	v_lshlrev_b32_e32 v0, 3, v191
	ds_write2_b64 v0, v[92:93], v[64:65] offset1:1
	ds_write2_b64 v0, v[66:67], v[60:61] offset0:2 offset1:3
	ds_write_b64 v0, v[62:63] offset:32
.LBB0_7:
	s_or_b32 exec_lo, exec_lo, s2
	v_add_nc_u32_e32 v8, 0x1800, v181
	v_add_nc_u32_e32 v0, 0x600, v181
	;; [unrolled: 1-line block ×6, first 2 shown]
	s_waitcnt lgkmcnt(0)
	s_barrier
	buffer_gl0_inv
	ds_read2_b64 v[4:7], v181 offset1:125
	ds_read2_b64 v[0:3], v0 offset0:58 offset1:208
	ds_read2_b64 v[56:59], v8 offset0:32 offset1:157
	ds_read2_b64 v[40:43], v9 offset0:26 offset1:176
	ds_read2_b64 v[52:55], v10 offset0:64 offset1:189
	ds_read2_b64 v[48:51], v11 offset0:13 offset1:138
	ds_read2_b64 v[44:47], v12 offset0:45 offset1:170
	ds_read_b64 v[68:69], v181 offset:14800
	s_and_saveexec_b32 s2, vcc_lo
	s_cbranch_execz .LBB0_9
; %bb.8:
	ds_read_b64 v[92:93], v181 offset:3000
	ds_read_b64 v[64:65], v181 offset:6200
	;; [unrolled: 1-line block ×5, first 2 shown]
.LBB0_9:
	s_or_b32 exec_lo, exec_lo, s2
	v_and_b32_e32 v109, 0xff, v182
	v_and_b32_e32 v110, 0xff, v108
	v_mov_b32_e32 v10, 0xcccd
	v_mov_b32_e32 v70, 3
	;; [unrolled: 1-line block ×3, first 2 shown]
	v_mul_lo_u16 v8, 0xcd, v109
	v_lshrrev_b16 v71, 10, v8
	v_mul_lo_u16 v8, 0xcd, v110
	v_mul_lo_u16 v9, v71, 5
	v_lshrrev_b16 v72, 10, v8
	v_mul_u32_u24_sdwa v71, v71, v79 dst_sel:DWORD dst_unused:UNUSED_PAD src0_sel:WORD_0 src1_sel:DWORD
	v_sub_nc_u16 v8, v182, v9
	v_mul_u32_u24_sdwa v9, v106, v10 dst_sel:DWORD dst_unused:UNUSED_PAD src0_sel:WORD_0 src1_sel:DWORD
	v_mul_lo_u16 v11, v72, 5
	v_mul_u32_u24_sdwa v72, v72, v79 dst_sel:DWORD dst_unused:UNUSED_PAD src0_sel:WORD_0 src1_sel:DWORD
	v_and_b32_e32 v73, 0xff, v8
	v_lshrrev_b32_e32 v74, 18, v9
	v_sub_nc_u16 v9, v108, v11
	v_mul_u32_u24_sdwa v8, v107, v10 dst_sel:DWORD dst_unused:UNUSED_PAD src0_sel:WORD_0 src1_sel:DWORD
	v_lshlrev_b32_e32 v10, 5, v73
	v_mul_lo_u16 v11, v74, 5
	v_and_b32_e32 v76, 0xff, v9
	v_lshrrev_b32_e32 v75, 18, v8
	v_add_lshl_u32 v187, v71, v73, 3
	global_load_dwordx4 v[32:35], v10, s[0:1]
	v_sub_nc_u16 v77, v106, v11
	v_lshlrev_b32_e32 v9, 5, v76
	v_mul_lo_u16 v8, v75, 5
	global_load_dwordx4 v[36:39], v10, s[0:1] offset:16
	v_add_lshl_u32 v186, v72, v76, 3
	v_mad_u16 v74, v74, 25, v77
	global_load_dwordx4 v[24:27], v9, s[0:1] offset:16
	v_lshlrev_b16 v10, 2, v77
	v_sub_nc_u16 v78, v107, v8
	global_load_dwordx4 v[28:31], v9, s[0:1]
	v_lshlrev_b32_sdwa v185, v70, v74 dst_sel:DWORD dst_unused:UNUSED_PAD src0_sel:DWORD src1_sel:WORD_0
	v_lshlrev_b32_sdwa v8, v70, v10 dst_sel:DWORD dst_unused:UNUSED_PAD src0_sel:DWORD src1_sel:WORD_0
	v_mad_u16 v184, v75, 25, v78
	global_load_dwordx4 v[20:23], v8, s[0:1]
	v_lshlrev_b16 v9, 2, v78
	v_lshlrev_b32_sdwa v9, v70, v9 dst_sel:DWORD dst_unused:UNUSED_PAD src0_sel:DWORD src1_sel:WORD_0
	s_clause 0x2
	global_load_dwordx4 v[16:19], v8, s[0:1] offset:16
	global_load_dwordx4 v[12:15], v9, s[0:1]
	global_load_dwordx4 v[8:11], v9, s[0:1] offset:16
	s_waitcnt vmcnt(0) lgkmcnt(0)
	s_barrier
	buffer_gl0_inv
	v_mul_f32_e32 v71, v3, v33
	v_mul_f32_e32 v72, v2, v33
	v_mul_f32_e32 v73, v57, v35
	v_mul_f32_e32 v74, v56, v35
	v_mul_f32_e32 v75, v43, v37
	v_mul_f32_e32 v76, v42, v37
	v_mul_f32_e32 v77, v53, v39
	v_mul_f32_e32 v78, v52, v39
	v_mul_f32_e32 v83, v45, v25
	v_mul_f32_e32 v84, v44, v25
	v_mul_f32_e32 v79, v49, v29
	v_mul_f32_e32 v80, v48, v29
	v_mul_f32_e32 v81, v59, v31
	v_mul_f32_e32 v82, v58, v31
	v_mul_f32_e32 v85, v55, v27
	v_mul_f32_e32 v86, v54, v27
	v_fma_f32 v2, v2, v32, -v71
	v_fmac_f32_e32 v72, v3, v32
	v_mul_f32_e32 v89, v41, v23
	v_mul_f32_e32 v87, v51, v21
	;; [unrolled: 1-line block ×4, first 2 shown]
	v_fma_f32 v3, v56, v34, -v73
	v_fmac_f32_e32 v74, v57, v34
	v_fma_f32 v56, v42, v36, -v75
	v_fmac_f32_e32 v76, v43, v36
	v_mul_f32_e32 v91, v47, v17
	v_mul_f32_e32 v96, v65, v13
	;; [unrolled: 1-line block ×12, first 2 shown]
	v_fma_f32 v57, v52, v38, -v77
	v_fmac_f32_e32 v78, v53, v38
	v_fma_f32 v42, v48, v28, -v79
	v_fmac_f32_e32 v80, v49, v28
	;; [unrolled: 2-line block ×5, first 2 shown]
	v_fma_f32 v45, v40, v22, -v89
	v_fma_f32 v52, v46, v16, -v91
	;; [unrolled: 1-line block ×3, first 2 shown]
	v_fmac_f32_e32 v97, v65, v12
	v_fma_f32 v46, v66, v14, -v98
	v_fmac_f32_e32 v99, v67, v14
	v_fma_f32 v53, v60, v8, -v100
	v_fmac_f32_e32 v101, v61, v8
	v_fma_f32 v62, v62, v10, -v103
	v_fmac_f32_e32 v111, v63, v10
	v_fma_f32 v44, v50, v20, -v87
	v_fmac_f32_e32 v88, v51, v20
	v_fmac_f32_e32 v90, v41, v22
	;; [unrolled: 1-line block ×3, first 2 shown]
	v_fma_f32 v68, v68, v18, -v95
	v_fmac_f32_e32 v102, v69, v18
	v_add_f32_e32 v41, v4, v2
	v_add_f32_e32 v47, v3, v56
	v_sub_f32_e32 v59, v72, v78
	v_add_f32_e32 v61, v5, v72
	v_add_f32_e32 v63, v74, v76
	v_sub_f32_e32 v66, v72, v74
	v_sub_f32_e32 v67, v78, v76
	v_add_f32_e32 v69, v72, v78
	v_sub_f32_e32 v71, v74, v72
	v_sub_f32_e32 v72, v76, v78
	;; [unrolled: 3-line block ×4, first 2 shown]
	v_sub_f32_e32 v42, v80, v82
	v_sub_f32_e32 v96, v86, v84
	v_add_f32_e32 v171, v46, v53
	v_add_f32_e32 v176, v40, v62
	;; [unrolled: 1-line block ×6, first 2 shown]
	v_sub_f32_e32 v49, v2, v3
	v_sub_f32_e32 v50, v57, v56
	v_add_f32_e32 v75, v43, v48
	v_add_f32_e32 v95, v82, v84
	;; [unrolled: 1-line block ×4, first 2 shown]
	v_sub_f32_e32 v54, v3, v2
	v_sub_f32_e32 v55, v56, v57
	;; [unrolled: 1-line block ×7, first 2 shown]
	v_add_f32_e32 v113, v0, v44
	v_add_f32_e32 v114, v45, v52
	v_sub_f32_e32 v117, v44, v45
	v_add_f32_e32 v119, v44, v68
	v_sub_f32_e32 v161, v45, v44
	v_add_f32_e32 v163, v1, v88
	v_add_f32_e32 v164, v90, v94
	v_sub_f32_e32 v165, v44, v68
	v_sub_f32_e32 v44, v88, v90
	;; [unrolled: 1-line block ×3, first 2 shown]
	v_add_f32_e32 v168, v88, v102
	v_add_f32_e32 v170, v92, v40
	v_sub_f32_e32 v172, v97, v111
	v_sub_f32_e32 v173, v99, v101
	;; [unrolled: 1-line block ×6, first 2 shown]
	v_add_f32_e32 v198, v41, v3
	v_fma_f32 v2, -0.5, v47, v4
	v_fma_f32 v3, -0.5, v63, v5
	v_add_f32_e32 v63, v66, v67
	v_add_f32_e32 v66, v71, v72
	;; [unrolled: 1-line block ×4, first 2 shown]
	v_fma_f32 v96, -0.5, v171, v92
	v_fmac_f32_e32 v92, -0.5, v176
	v_add_f32_e32 v83, v179, v99
	v_fma_f32 v97, -0.5, v180, v93
	v_fmac_f32_e32 v93, -0.5, v195
	v_sub_f32_e32 v60, v74, v76
	v_fma_f32 v4, -0.5, v51, v4
	v_fma_f32 v5, -0.5, v69, v5
	v_sub_f32_e32 v115, v88, v102
	v_sub_f32_e32 v88, v90, v88
	;; [unrolled: 1-line block ×5, first 2 shown]
	v_add_f32_e32 v199, v49, v50
	v_add_f32_e32 v49, v61, v74
	;; [unrolled: 1-line block ×3, first 2 shown]
	v_fma_f32 v40, -0.5, v75, v6
	v_fma_f32 v41, -0.5, v95, v7
	v_sub_f32_e32 v79, v82, v84
	v_sub_f32_e32 v112, v43, v48
	v_fma_f32 v6, -0.5, v85, v6
	v_add_f32_e32 v51, v91, v82
	v_fmac_f32_e32 v7, -0.5, v98
	v_sub_f32_e32 v89, v48, v58
	v_sub_f32_e32 v116, v90, v94
	;; [unrolled: 1-line block ×7, first 2 shown]
	v_add_f32_e32 v200, v54, v55
	v_add_f32_e32 v72, v80, v100
	;; [unrolled: 1-line block ×3, first 2 shown]
	v_fma_f32 v42, -0.5, v114, v0
	v_fma_f32 v0, -0.5, v119, v0
	v_add_f32_e32 v55, v163, v90
	v_fma_f32 v43, -0.5, v164, v1
	v_add_f32_e32 v75, v44, v167
	v_fmac_f32_e32 v1, -0.5, v168
	v_add_f32_e32 v61, v170, v46
	v_fmamk_f32 v44, v59, 0x3f737871, v2
	v_fmamk_f32 v45, v64, 0xbf737871, v3
	v_add_f32_e32 v83, v83, v101
	v_fmamk_f32 v98, v172, 0x3f737871, v96
	v_fmac_f32_e32 v96, 0xbf737871, v172
	v_fmamk_f32 v100, v173, 0xbf737871, v92
	v_fmac_f32_e32 v92, 0x3f737871, v173
	v_fmamk_f32 v99, v183, 0xbf737871, v97
	v_fmac_f32_e32 v97, 0x3f737871, v183
	v_fmamk_f32 v101, v192, 0x3f737871, v93
	v_fmac_f32_e32 v93, 0xbf737871, v192
	v_fmamk_f32 v46, v60, 0xbf737871, v4
	v_fmac_f32_e32 v4, 0x3f737871, v60
	v_fmamk_f32 v47, v65, 0x3f737871, v5
	v_fmac_f32_e32 v5, 0xbf737871, v65
	v_fmac_f32_e32 v2, 0xbf737871, v59
	v_fmac_f32_e32 v3, 0x3f737871, v64
	v_add_f32_e32 v80, v88, v169
	v_add_f32_e32 v76, v49, v76
	;; [unrolled: 1-line block ×3, first 2 shown]
	v_fmamk_f32 v48, v77, 0x3f737871, v40
	v_fmamk_f32 v49, v103, 0xbf737871, v41
	;; [unrolled: 1-line block ×3, first 2 shown]
	v_fmac_f32_e32 v6, 0x3f737871, v79
	v_add_f32_e32 v84, v51, v84
	v_fmamk_f32 v51, v112, 0x3f737871, v7
	v_fmac_f32_e32 v7, 0xbf737871, v112
	v_sub_f32_e32 v118, v68, v52
	v_sub_f32_e32 v162, v52, v68
	v_add_f32_e32 v69, v87, v89
	v_add_f32_e32 v81, v174, v175
	;; [unrolled: 1-line block ×6, first 2 shown]
	v_fmac_f32_e32 v40, 0xbf737871, v77
	v_fmac_f32_e32 v41, 0x3f737871, v103
	v_add_f32_e32 v89, v54, v52
	v_fmamk_f32 v52, v115, 0x3f737871, v42
	v_fmac_f32_e32 v42, 0xbf737871, v115
	v_add_f32_e32 v90, v55, v94
	v_add_f32_e32 v91, v61, v53
	v_fmamk_f32 v54, v116, 0xbf737871, v0
	v_fmac_f32_e32 v0, 0x3f737871, v116
	v_fmamk_f32 v53, v165, 0xbf737871, v43
	v_fmac_f32_e32 v43, 0x3f737871, v165
	;; [unrolled: 2-line block ×3, first 2 shown]
	v_fmac_f32_e32 v44, 0x3f167918, v60
	v_fmac_f32_e32 v45, 0xbf167918, v65
	;; [unrolled: 1-line block ×22, first 2 shown]
	v_add_f32_e32 v73, v117, v118
	v_add_f32_e32 v74, v161, v162
	;; [unrolled: 1-line block ×4, first 2 shown]
	v_fmac_f32_e32 v40, 0xbf167918, v79
	v_fmac_f32_e32 v41, 0x3f167918, v112
	;; [unrolled: 1-line block ×10, first 2 shown]
	v_add_f32_e32 v94, v91, v62
	v_add_f32_e32 v95, v83, v111
	v_fmac_f32_e32 v44, 0x3e9e377a, v199
	v_fmac_f32_e32 v45, 0x3e9e377a, v63
	;; [unrolled: 1-line block ×16, first 2 shown]
	v_add_f32_e32 v58, v88, v58
	v_add_f32_e32 v59, v84, v86
	v_fmac_f32_e32 v48, 0x3e9e377a, v67
	v_fmac_f32_e32 v49, 0x3e9e377a, v71
	;; [unrolled: 1-line block ×6, first 2 shown]
	v_add_f32_e32 v60, v89, v68
	v_add_f32_e32 v61, v90, v102
	v_fmac_f32_e32 v40, 0x3e9e377a, v67
	v_fmac_f32_e32 v41, 0x3e9e377a, v71
	;; [unrolled: 1-line block ×10, first 2 shown]
	ds_write2_b64 v187, v[56:57], v[44:45] offset1:5
	ds_write2_b64 v187, v[46:47], v[4:5] offset0:10 offset1:15
	ds_write_b64 v187, v[2:3] offset:160
	ds_write2_b64 v186, v[58:59], v[48:49] offset1:5
	ds_write2_b64 v186, v[50:51], v[6:7] offset0:10 offset1:15
	ds_write_b64 v186, v[40:41] offset:160
	;; [unrolled: 3-line block ×3, first 2 shown]
	s_and_saveexec_b32 s2, vcc_lo
	s_cbranch_execz .LBB0_11
; %bb.10:
	v_lshlrev_b32_sdwa v0, v70, v184 dst_sel:DWORD dst_unused:UNUSED_PAD src0_sel:DWORD src1_sel:WORD_0
	ds_write2_b64 v0, v[94:95], v[98:99] offset1:5
	ds_write2_b64 v0, v[100:101], v[92:93] offset0:10 offset1:15
	ds_write_b64 v0, v[96:97] offset:160
.LBB0_11:
	s_or_b32 exec_lo, exec_lo, s2
	v_add_nc_u32_e32 v0, 0x600, v181
	s_waitcnt lgkmcnt(0)
	s_barrier
	buffer_gl0_inv
	ds_read2_b64 v[68:71], v181 offset1:125
	ds_read2_b64 v[64:67], v0 offset0:58 offset1:208
	v_add_nc_u32_e32 v0, 0x1800, v181
	v_add_nc_u32_e32 v1, 0x2000, v181
	;; [unrolled: 1-line block ×5, first 2 shown]
	ds_read2_b64 v[88:91], v0 offset0:32 offset1:157
	ds_read2_b64 v[72:75], v1 offset0:26 offset1:176
	;; [unrolled: 1-line block ×5, first 2 shown]
	ds_read_b64 v[102:103], v181 offset:14800
	s_and_saveexec_b32 s2, vcc_lo
	s_cbranch_execz .LBB0_13
; %bb.12:
	ds_read_b64 v[94:95], v181 offset:3000
	ds_read_b64 v[98:99], v181 offset:6200
	;; [unrolled: 1-line block ×5, first 2 shown]
.LBB0_13:
	s_or_b32 exec_lo, exec_lo, s2
	v_mul_lo_u16 v0, v109, 41
	v_lshrrev_b16 v109, 10, v0
	v_mul_lo_u16 v0, v110, 41
	v_mul_lo_u16 v1, v109, 25
	v_lshrrev_b16 v110, 10, v0
	v_sub_nc_u16 v0, v182, v1
	v_mul_lo_u16 v1, v110, 25
	v_and_b32_e32 v111, 0xff, v0
	v_sub_nc_u16 v0, v108, v1
	v_lshlrev_b32_e32 v1, 5, v111
	v_and_b32_e32 v108, 0xff, v0
	global_load_dwordx4 v[56:59], v1, s[0:1] offset:160
	v_lshlrev_b32_e32 v0, 5, v108
	s_clause 0x2
	global_load_dwordx4 v[48:51], v1, s[0:1] offset:176
	global_load_dwordx4 v[44:47], v0, s[0:1] offset:160
	;; [unrolled: 1-line block ×3, first 2 shown]
	v_mov_b32_e32 v0, 0x47af
	v_mul_u32_u24_sdwa v1, v106, v0 dst_sel:DWORD dst_unused:UNUSED_PAD src0_sel:WORD_0 src1_sel:DWORD
	v_mul_u32_u24_sdwa v0, v107, v0 dst_sel:DWORD dst_unused:UNUSED_PAD src0_sel:WORD_0 src1_sel:DWORD
	v_lshrrev_b32_e32 v1, 16, v1
	v_lshrrev_b32_e32 v0, 16, v0
	v_sub_nc_u16 v2, v106, v1
	v_sub_nc_u16 v3, v107, v0
	v_lshrrev_b16 v2, 1, v2
	v_add_nc_u16 v1, v2, v1
	v_lshrrev_b16 v2, 1, v3
	v_lshrrev_b16 v112, 4, v1
	v_add_nc_u16 v0, v2, v0
	v_mul_lo_u16 v1, v112, 25
	v_lshrrev_b16 v0, 4, v0
	v_sub_nc_u16 v113, v106, v1
	v_mul_lo_u16 v0, v0, 25
	v_mov_b32_e32 v106, 3
	v_lshlrev_b16 v1, 5, v113
	v_sub_nc_u16 v183, v107, v0
	v_mov_b32_e32 v107, 0x7d
	v_and_b32_e32 v0, 0xffff, v1
	v_lshlrev_b16 v2, 5, v183
	v_mul_u32_u24_sdwa v109, v109, v107 dst_sel:DWORD dst_unused:UNUSED_PAD src0_sel:WORD_0 src1_sel:DWORD
	v_mul_u32_u24_sdwa v107, v110, v107 dst_sel:DWORD dst_unused:UNUSED_PAD src0_sel:WORD_0 src1_sel:DWORD
	v_mad_u16 v110, 0x7d, v112, v113
	v_add_co_u32 v0, s2, s0, v0
	v_and_b32_e32 v2, 0xffff, v2
	v_add_co_ci_u32_e64 v1, null, s1, 0, s2
	v_add_lshl_u32 v194, v109, v111, 3
	v_add_lshl_u32 v193, v107, v108, 3
	v_add_co_u32 v2, s2, s0, v2
	v_add_co_ci_u32_e64 v3, null, s1, 0, s2
	s_clause 0x3
	global_load_dwordx4 v[60:63], v[0:1], off offset:160
	global_load_dwordx4 v[52:55], v[0:1], off offset:176
	;; [unrolled: 1-line block ×4, first 2 shown]
	v_lshlrev_b32_sdwa v192, v106, v110 dst_sel:DWORD dst_unused:UNUSED_PAD src0_sel:DWORD src1_sel:WORD_0
	s_waitcnt vmcnt(0) lgkmcnt(0)
	s_barrier
	buffer_gl0_inv
	v_mul_f32_e32 v107, v67, v57
	v_mul_f32_e32 v108, v66, v57
	;; [unrolled: 1-line block ×16, first 2 shown]
	v_fma_f32 v66, v66, v56, -v107
	v_fmac_f32_e32 v108, v67, v56
	v_fma_f32 v67, v88, v58, -v109
	v_fmac_f32_e32 v110, v89, v58
	;; [unrolled: 2-line block ×4, first 2 shown]
	v_fma_f32 v74, v80, v44, -v115
	v_fma_f32 v80, v90, v46, -v117
	;; [unrolled: 1-line block ×4, first 2 shown]
	v_fmac_f32_e32 v116, v81, v44
	v_fmac_f32_e32 v118, v91, v46
	;; [unrolled: 1-line block ×4, first 2 shown]
	v_add_f32_e32 v75, v68, v66
	v_add_f32_e32 v76, v67, v88
	v_sub_f32_e32 v77, v66, v67
	v_sub_f32_e32 v81, v107, v88
	v_add_f32_e32 v84, v66, v107
	v_sub_f32_e32 v85, v67, v66
	v_sub_f32_e32 v86, v88, v107
	v_add_f32_e32 v87, v69, v108
	v_add_f32_e32 v90, v110, v112
	;; [unrolled: 1-line block ×6, first 2 shown]
	v_sub_f32_e32 v91, v108, v110
	v_sub_f32_e32 v117, v114, v112
	v_add_f32_e32 v173, v71, v116
	v_add_f32_e32 v174, v118, v161
	;; [unrolled: 1-line block ×3, first 2 shown]
	v_sub_f32_e32 v111, v108, v114
	v_sub_f32_e32 v113, v110, v112
	;; [unrolled: 1-line block ×12, first 2 shown]
	v_add_f32_e32 v67, v75, v67
	v_fma_f32 v74, -0.5, v76, v68
	v_add_f32_e32 v195, v77, v81
	v_fma_f32 v76, -0.5, v84, v68
	v_add_f32_e32 v68, v85, v86
	v_add_f32_e32 v85, v87, v110
	v_fma_f32 v75, -0.5, v90, v69
	v_fma_f32 v77, -0.5, v119, v69
	v_add_f32_e32 v90, v164, v80
	v_fma_f32 v80, -0.5, v165, v70
	v_fma_f32 v70, -0.5, v170, v70
	v_add_f32_e32 v117, v91, v117
	v_add_f32_e32 v91, v173, v118
	v_fma_f32 v81, -0.5, v174, v71
	v_fmac_f32_e32 v71, -0.5, v179
	v_sub_f32_e32 v169, v109, v89
	v_sub_f32_e32 v172, v89, v109
	v_add_f32_e32 v69, v108, v162
	v_add_f32_e32 v67, v67, v88
	v_fmamk_f32 v84, v111, 0x3f737871, v74
	v_fmamk_f32 v86, v113, 0xbf737871, v76
	v_fmac_f32_e32 v76, 0x3f737871, v113
	v_add_f32_e32 v108, v85, v112
	v_fmamk_f32 v85, v66, 0xbf737871, v75
	v_fmamk_f32 v87, v115, 0x3f737871, v77
	v_fmac_f32_e32 v77, 0xbf737871, v115
	v_add_f32_e32 v110, v90, v89
	v_fmamk_f32 v88, v166, 0x3f737871, v80
	v_fmac_f32_e32 v80, 0xbf737871, v166
	v_fmamk_f32 v90, v167, 0xbf737871, v70
	v_fmac_f32_e32 v70, 0x3f737871, v167
	v_sub_f32_e32 v177, v116, v118
	v_sub_f32_e32 v116, v118, v116
	;; [unrolled: 1-line block ×3, first 2 shown]
	v_add_f32_e32 v112, v91, v161
	v_fmamk_f32 v91, v176, 0x3f737871, v71
	v_fmac_f32_e32 v71, 0xbf737871, v176
	v_sub_f32_e32 v178, v163, v161
	v_fmac_f32_e32 v74, 0xbf737871, v111
	v_fmac_f32_e32 v75, 0x3f737871, v66
	v_fmamk_f32 v89, v175, 0xbf737871, v81
	v_fmac_f32_e32 v81, 0x3f737871, v175
	v_add_f32_e32 v119, v168, v169
	v_add_f32_e32 v162, v171, v172
	v_fmac_f32_e32 v84, 0x3f167918, v113
	v_fmac_f32_e32 v86, 0x3f167918, v111
	;; [unrolled: 1-line block ×10, first 2 shown]
	v_add_f32_e32 v116, v116, v180
	v_fmac_f32_e32 v91, 0xbf167918, v175
	v_fmac_f32_e32 v71, 0x3f167918, v175
	v_add_f32_e32 v118, v177, v178
	v_fmac_f32_e32 v74, 0xbf167918, v113
	v_fmac_f32_e32 v75, 0x3f167918, v115
	;; [unrolled: 1-line block ×4, first 2 shown]
	v_add_f32_e32 v107, v67, v107
	v_add_f32_e32 v108, v108, v114
	;; [unrolled: 1-line block ×4, first 2 shown]
	v_fmac_f32_e32 v84, 0x3e9e377a, v195
	v_fmac_f32_e32 v86, 0x3e9e377a, v68
	;; [unrolled: 1-line block ×10, first 2 shown]
	v_mul_f32_e32 v113, v73, v63
	v_mul_f32_e32 v114, v72, v63
	;; [unrolled: 1-line block ×10, first 2 shown]
	v_fmac_f32_e32 v91, 0x3e9e377a, v116
	v_fmac_f32_e32 v71, 0x3e9e377a, v116
	v_mul_f32_e32 v111, v83, v61
	v_mul_f32_e32 v115, v79, v53
	;; [unrolled: 1-line block ×3, first 2 shown]
	v_fmac_f32_e32 v74, 0x3e9e377a, v195
	v_fmac_f32_e32 v75, 0x3e9e377a, v117
	;; [unrolled: 1-line block ×4, first 2 shown]
	v_mul_f32_e32 v112, v82, v61
	v_mul_f32_e32 v117, v103, v55
	;; [unrolled: 1-line block ×3, first 2 shown]
	ds_write2_b64 v194, v[107:108], v[84:85] offset1:25
	ds_write2_b64 v194, v[86:87], v[76:77] offset0:50 offset1:75
	ds_write_b64 v194, v[74:75] offset:800
	ds_write2_b64 v193, v[109:110], v[88:89] offset1:25
	ds_write2_b64 v193, v[90:91], v[70:71] offset0:50 offset1:75
	v_fma_f32 v75, v72, v62, -v113
	v_fmac_f32_e32 v114, v73, v62
	v_fma_f32 v72, v98, v4, -v119
	v_fmac_f32_e32 v69, v99, v4
	;; [unrolled: 2-line block ×5, first 2 shown]
	v_fma_f32 v74, v82, v60, -v111
	v_fma_f32 v76, v78, v52, -v115
	v_fmac_f32_e32 v116, v79, v52
	v_fmac_f32_e32 v112, v83, v60
	v_fma_f32 v82, v102, v54, -v117
	v_fmac_f32_e32 v118, v103, v54
	v_add_f32_e32 v100, v73, v71
	v_add_f32_e32 v108, v72, v70
	v_add_f32_e32 v111, v68, v67
	v_add_f32_e32 v119, v69, v66
	v_add_f32_e32 v77, v64, v74
	v_add_f32_e32 v78, v75, v76
	v_add_f32_e32 v90, v114, v116
	v_sub_f32_e32 v79, v74, v75
	v_sub_f32_e32 v85, v82, v76
	v_add_f32_e32 v86, v74, v82
	v_add_f32_e32 v89, v65, v112
	;; [unrolled: 1-line block ×3, first 2 shown]
	v_sub_f32_e32 v83, v112, v118
	v_sub_f32_e32 v93, v112, v114
	;; [unrolled: 1-line block ×7, first 2 shown]
	v_fma_f32 v163, -0.5, v100, v94
	v_fma_f32 v165, -0.5, v108, v94
	;; [unrolled: 1-line block ×4, first 2 shown]
	v_sub_f32_e32 v87, v75, v74
	v_sub_f32_e32 v91, v74, v82
	;; [unrolled: 1-line block ×3, first 2 shown]
	v_add_f32_e32 v77, v77, v75
	v_fma_f32 v74, -0.5, v78, v64
	v_fma_f32 v75, -0.5, v90, v65
	v_sub_f32_e32 v84, v114, v116
	v_sub_f32_e32 v88, v76, v82
	v_sub_f32_e32 v99, v116, v118
	v_add_f32_e32 v85, v79, v85
	v_fma_f32 v64, -0.5, v86, v64
	v_add_f32_e32 v79, v89, v114
	v_fmac_f32_e32 v65, -0.5, v97
	v_sub_f32_e32 v96, v118, v116
	v_sub_f32_e32 v103, v72, v73
	;; [unrolled: 1-line block ×9, first 2 shown]
	v_fmamk_f32 v167, v101, 0x3f737871, v163
	v_fmac_f32_e32 v163, 0xbf737871, v101
	v_fmamk_f32 v169, v102, 0xbf737871, v165
	v_fmac_f32_e32 v165, 0x3f737871, v102
	v_fmamk_f32 v168, v112, 0xbf737871, v164
	v_fmac_f32_e32 v164, 0x3f737871, v112
	v_fmamk_f32 v170, v113, 0x3f737871, v166
	v_fmac_f32_e32 v166, 0xbf737871, v113
	v_add_f32_e32 v97, v77, v76
	v_fmamk_f32 v76, v83, 0x3f737871, v74
	v_fmamk_f32 v77, v91, 0xbf737871, v75
	v_add_f32_e32 v86, v87, v88
	v_add_f32_e32 v88, v98, v99
	v_fmamk_f32 v78, v84, 0xbf737871, v64
	v_fmac_f32_e32 v64, 0x3f737871, v84
	v_add_f32_e32 v98, v79, v116
	v_fmamk_f32 v79, v92, 0x3f737871, v65
	v_fmac_f32_e32 v65, 0xbf737871, v92
	v_fmac_f32_e32 v74, 0xbf737871, v83
	;; [unrolled: 1-line block ×3, first 2 shown]
	v_add_f32_e32 v87, v93, v96
	v_add_f32_e32 v89, v103, v107
	;; [unrolled: 1-line block ×5, first 2 shown]
	v_fmac_f32_e32 v167, 0x3f167918, v102
	v_fmac_f32_e32 v163, 0xbf167918, v102
	v_fmac_f32_e32 v169, 0x3f167918, v101
	v_fmac_f32_e32 v165, 0xbf167918, v101
	v_fmac_f32_e32 v168, 0xbf167918, v113
	v_fmac_f32_e32 v164, 0x3f167918, v113
	v_fmac_f32_e32 v170, 0xbf167918, v112
	v_fmac_f32_e32 v166, 0x3f167918, v112
	v_fmac_f32_e32 v76, 0x3f167918, v84
	v_fmac_f32_e32 v77, 0xbf167918, v92
	v_fmac_f32_e32 v78, 0x3f167918, v83
	v_fmac_f32_e32 v64, 0xbf167918, v83
	v_fmac_f32_e32 v79, 0xbf167918, v91
	v_fmac_f32_e32 v65, 0x3f167918, v91
	v_fmac_f32_e32 v74, 0xbf167918, v84
	v_fmac_f32_e32 v75, 0x3f167918, v92
	v_fmac_f32_e32 v167, 0x3e9e377a, v89
	v_fmac_f32_e32 v163, 0x3e9e377a, v89
	v_fmac_f32_e32 v169, 0x3e9e377a, v90
	v_fmac_f32_e32 v165, 0x3e9e377a, v90
	v_fmac_f32_e32 v168, 0x3e9e377a, v93
	v_fmac_f32_e32 v164, 0x3e9e377a, v93
	v_fmac_f32_e32 v170, 0x3e9e377a, v96
	v_fmac_f32_e32 v166, 0x3e9e377a, v96
	v_add_f32_e32 v82, v97, v82
	v_add_f32_e32 v83, v98, v118
	v_fmac_f32_e32 v76, 0x3e9e377a, v85
	v_fmac_f32_e32 v77, 0x3e9e377a, v87
	;; [unrolled: 1-line block ×8, first 2 shown]
	ds_write_b64 v193, v[80:81] offset:800
	ds_write2_b64 v192, v[82:83], v[76:77] offset1:25
	ds_write2_b64 v192, v[78:79], v[64:65] offset0:50 offset1:75
	ds_write_b64 v192, v[74:75] offset:800
	s_and_saveexec_b32 s2, vcc_lo
	s_cbranch_execz .LBB0_15
; %bb.14:
	v_add_f32_e32 v64, v95, v69
	v_add_f32_e32 v65, v94, v72
	;; [unrolled: 1-line block ×4, first 2 shown]
	v_lshlrev_b32_sdwa v68, v106, v183 dst_sel:DWORD dst_unused:UNUSED_PAD src0_sel:DWORD src1_sel:WORD_0
	v_add_f32_e32 v64, v64, v67
	v_add_f32_e32 v67, v65, v71
	v_add_nc_u32_e32 v69, 0x3800, v68
	v_add_f32_e32 v65, v64, v66
	v_add_f32_e32 v64, v67, v70
	ds_write2_b64 v69, v[169:170], v[165:166] offset0:133 offset1:158
	ds_write2_b64 v69, v[64:65], v[167:168] offset0:83 offset1:108
	ds_write_b64 v68, v[163:164] offset:15800
.LBB0_15:
	s_or_b32 exec_lo, exec_lo, s2
	v_mad_u64_u32 v[92:93], null, 0x78, v182, s[0:1]
	s_waitcnt lgkmcnt(0)
	s_barrier
	buffer_gl0_inv
	v_add_nc_u32_e32 v203, 0x400, v181
	v_add_nc_u32_e32 v95, 0xc00, v181
	;; [unrolled: 1-line block ×3, first 2 shown]
	s_clause 0x7
	global_load_dwordx4 v[88:91], v[92:93], off offset:960
	global_load_dwordx4 v[80:83], v[92:93], off offset:976
	;; [unrolled: 1-line block ×7, first 2 shown]
	global_load_dwordx2 v[161:162], v[92:93], off offset:1072
	v_add_nc_u32_e32 v96, 0x1c00, v181
	v_add_nc_u32_e32 v99, 0x2400, v181
	;; [unrolled: 1-line block ×4, first 2 shown]
	ds_read2_b64 v[100:103], v181 offset1:125
	ds_read2_b64 v[106:109], v203 offset0:122 offset1:247
	ds_read2_b64 v[110:113], v95 offset0:116 offset1:241
	;; [unrolled: 1-line block ×7, first 2 shown]
	s_waitcnt vmcnt(7) lgkmcnt(7)
	v_mul_f32_e32 v92, v103, v89
	v_mul_f32_e32 v93, v102, v89
	s_waitcnt lgkmcnt(6)
	v_mul_f32_e32 v118, v107, v91
	v_mul_f32_e32 v119, v106, v91
	s_waitcnt vmcnt(6)
	v_mul_f32_e32 v179, v109, v81
	v_mul_f32_e32 v180, v108, v81
	s_waitcnt lgkmcnt(5)
	v_mul_f32_e32 v204, v111, v83
	v_mul_f32_e32 v205, v110, v83
	s_waitcnt vmcnt(5)
	;; [unrolled: 6-line block ×7, first 2 shown]
	v_mul_f32_e32 v226, v202, v162
	v_mul_f32_e32 v227, v201, v162
	v_fma_f32 v92, v102, v88, -v92
	v_fmac_f32_e32 v93, v103, v88
	v_fma_f32 v102, v106, v90, -v118
	v_fmac_f32_e32 v119, v107, v90
	;; [unrolled: 2-line block ×15, first 2 shown]
	v_sub_f32_e32 v110, v100, v110
	v_sub_f32_e32 v118, v101, v213
	;; [unrolled: 1-line block ×16, first 2 shown]
	v_fma_f32 v100, v100, 2.0, -v110
	v_fma_f32 v101, v101, 2.0, -v118
	;; [unrolled: 1-line block ×15, first 2 shown]
	v_sub_f32_e32 v171, v110, v171
	v_add_f32_e32 v114, v118, v114
	v_sub_f32_e32 v173, v112, v173
	v_add_f32_e32 v116, v172, v116
	;; [unrolled: 2-line block ×4, first 2 shown]
	v_fma_f32 v102, v102, 2.0, -v112
	v_sub_f32_e32 v106, v100, v106
	v_sub_f32_e32 v178, v101, v178
	v_fma_f32 v110, v110, 2.0, -v171
	v_fma_f32 v118, v118, 2.0, -v114
	v_sub_f32_e32 v179, v119, v179
	v_fma_f32 v112, v112, 2.0, -v173
	v_fma_f32 v172, v172, 2.0, -v116
	v_sub_f32_e32 v107, v92, v107
	v_sub_f32_e32 v195, v93, v195
	v_fma_f32 v111, v111, 2.0, -v175
	v_fma_f32 v197, v174, 2.0, -v115
	v_sub_f32_e32 v109, v103, v109
	v_sub_f32_e32 v174, v180, v196
	v_fma_f32 v113, v113, 2.0, -v177
	v_fma_f32 v176, v176, 2.0, -v117
	v_fmamk_f32 v196, v173, 0x3f3504f3, v171
	v_sub_f32_e32 v108, v102, v108
	v_fmamk_f32 v198, v116, 0x3f3504f3, v114
	v_fmamk_f32 v200, v117, 0x3f3504f3, v115
	v_fma_f32 v101, v101, 2.0, -v178
	v_fma_f32 v119, v119, 2.0, -v179
	;; [unrolled: 1-line block ×6, first 2 shown]
	v_fmamk_f32 v204, v112, 0xbf3504f3, v110
	v_fmamk_f32 v205, v172, 0xbf3504f3, v118
	v_sub_f32_e32 v179, v106, v179
	v_fmac_f32_e32 v196, 0xbf3504f3, v116
	v_fmamk_f32 v116, v113, 0xbf3504f3, v111
	v_fmamk_f32 v206, v176, 0xbf3504f3, v197
	;; [unrolled: 1-line block ×3, first 2 shown]
	v_fma_f32 v100, v100, 2.0, -v106
	v_fma_f32 v102, v102, 2.0, -v108
	v_add_f32_e32 v180, v178, v108
	v_add_f32_e32 v208, v195, v109
	v_fmac_f32_e32 v200, 0x3f3504f3, v177
	v_sub_f32_e32 v119, v101, v119
	v_fmac_f32_e32 v204, 0xbf3504f3, v172
	v_fmac_f32_e32 v205, 0x3f3504f3, v112
	v_fma_f32 v177, v106, 2.0, -v179
	v_sub_f32_e32 v108, v201, v92
	v_sub_f32_e32 v106, v202, v93
	v_fmac_f32_e32 v116, 0xbf3504f3, v176
	v_fmac_f32_e32 v206, 0x3f3504f3, v113
	;; [unrolled: 1-line block ×3, first 2 shown]
	v_sub_f32_e32 v207, v107, v174
	v_fmac_f32_e32 v199, 0xbf3504f3, v117
	v_sub_f32_e32 v117, v100, v102
	v_fma_f32 v209, v171, 2.0, -v196
	v_fma_f32 v171, v195, 2.0, -v208
	;; [unrolled: 1-line block ×14, first 2 shown]
	v_fmamk_f32 v92, v207, 0x3f3504f3, v179
	v_fmamk_f32 v93, v208, 0x3f3504f3, v180
	v_fma_f32 v175, v100, 2.0, -v117
	v_sub_f32_e32 v111, v176, v112
	v_fmamk_f32 v112, v201, 0xbf6c835e, v195
	v_fmamk_f32 v113, v197, 0xbf6c835e, v211
	;; [unrolled: 1-line block ×7, first 2 shown]
	v_add_f32_e32 v107, v119, v108
	v_fmamk_f32 v108, v116, 0x3ec3ef15, v204
	v_fmamk_f32 v109, v206, 0x3ec3ef15, v205
	;; [unrolled: 1-line block ×3, first 2 shown]
	v_sub_f32_e32 v106, v117, v106
	v_fmac_f32_e32 v92, 0xbf3504f3, v208
	v_fmac_f32_e32 v93, 0x3f3504f3, v207
	v_sub_f32_e32 v110, v175, v110
	v_fmac_f32_e32 v112, 0xbec3ef15, v197
	v_fmac_f32_e32 v113, 0x3ec3ef15, v201
	;; [unrolled: 1-line block ×10, first 2 shown]
	v_fma_f32 v114, v117, 2.0, -v106
	v_fma_f32 v116, v179, 2.0, -v92
	;; [unrolled: 1-line block ×16, first 2 shown]
	ds_write2_b64 v181, v[171:172], v[179:180] offset1:125
	ds_write2_b64 v203, v[175:176], v[177:178] offset0:122 offset1:247
	ds_write2_b64 v95, v[114:115], v[195:196] offset0:116 offset1:241
	;; [unrolled: 1-line block ×7, first 2 shown]
	s_waitcnt lgkmcnt(0)
	s_barrier
	buffer_gl0_inv
	global_load_dwordx2 v[100:101], v[128:129], off offset:1664
	v_add_co_u32 v92, s0, 0x3e80, v104
	v_add_co_ci_u32_e64 v93, s0, 0, v105, s0
	v_add_co_u32 v102, s0, 0x4800, v104
	v_add_co_ci_u32_e64 v103, s0, 0, v105, s0
	;; [unrolled: 2-line block ×4, first 2 shown]
	s_clause 0x1
	global_load_dwordx2 v[117:118], v[92:93], off offset:1000
	global_load_dwordx2 v[171:172], v[106:107], off offset:80
	v_add_co_u32 v106, s0, 0x6000, v104
	v_add_co_ci_u32_e64 v107, s0, 0, v105, s0
	v_add_co_u32 v110, s0, 0x7000, v104
	v_add_co_ci_u32_e64 v111, s0, 0, v105, s0
	;; [unrolled: 2-line block ×3, first 2 shown]
	s_clause 0x9
	global_load_dwordx2 v[179:180], v[102:103], off offset:768
	global_load_dwordx2 v[207:208], v[108:109], off offset:1920
	;; [unrolled: 1-line block ×10, first 2 shown]
	v_add_co_u32 v102, s0, 0x6800, v104
	v_add_co_ci_u32_e64 v103, s0, 0, v105, s0
	s_clause 0x1
	global_load_dwordx2 v[225:226], v[108:109], off offset:720
	global_load_dwordx2 v[227:228], v[102:103], off offset:976
	ds_read2_b64 v[104:107], v181 offset1:125
	ds_read_b64 v[229:230], v181 offset:14800
	s_waitcnt vmcnt(14) lgkmcnt(1)
	v_mul_f32_e32 v102, v105, v101
	v_mul_f32_e32 v109, v104, v101
	v_add_nc_u32_e32 v101, 0x1800, v181
	v_fma_f32 v108, v104, v100, -v102
	v_fmac_f32_e32 v109, v105, v100
	v_add_nc_u32_e32 v102, 0x600, v181
	v_add_nc_u32_e32 v100, 0x2000, v181
	;; [unrolled: 1-line block ×4, first 2 shown]
	ds_write_b64 v181, v[108:109]
	v_add_nc_u32_e32 v108, 0x2800, v181
	ds_read2_b64 v[109:112], v102 offset0:58 offset1:208
	ds_read2_b64 v[113:116], v101 offset0:32 offset1:157
	;; [unrolled: 1-line block ×6, first 2 shown]
	s_waitcnt vmcnt(13)
	v_mul_f32_e32 v103, v107, v118
	v_mul_f32_e32 v119, v106, v118
	s_waitcnt vmcnt(12) lgkmcnt(7)
	v_mul_f32_e32 v231, v230, v172
	v_mul_f32_e32 v232, v229, v172
	v_fma_f32 v118, v106, v117, -v103
	v_fmac_f32_e32 v119, v107, v117
	v_fma_f32 v231, v229, v171, -v231
	v_fmac_f32_e32 v232, v230, v171
	s_waitcnt vmcnt(11) lgkmcnt(5)
	v_mul_f32_e32 v103, v112, v180
	v_mul_f32_e32 v107, v111, v180
	s_waitcnt vmcnt(9) lgkmcnt(3)
	v_mul_f32_e32 v229, v178, v210
	v_mul_f32_e32 v180, v177, v210
	;; [unrolled: 3-line block ×3, first 2 shown]
	v_mul_f32_e32 v171, v114, v208
	v_mul_f32_e32 v172, v113, v208
	;; [unrolled: 1-line block ×4, first 2 shown]
	s_waitcnt vmcnt(5)
	v_mul_f32_e32 v212, v115, v218
	s_waitcnt lgkmcnt(0)
	v_mul_f32_e32 v235, v204, v216
	v_mul_f32_e32 v117, v203, v216
	s_waitcnt vmcnt(2)
	v_mul_f32_e32 v237, v110, v224
	v_mul_f32_e32 v216, v109, v224
	;; [unrolled: 1-line block ×3, first 2 shown]
	s_waitcnt vmcnt(1)
	v_mul_f32_e32 v224, v202, v226
	v_mul_f32_e32 v218, v201, v226
	;; [unrolled: 1-line block ×6, first 2 shown]
	s_waitcnt vmcnt(0)
	v_mul_f32_e32 v238, v206, v228
	v_mul_f32_e32 v220, v205, v228
	v_fma_f32 v106, v111, v179, -v103
	v_fmac_f32_e32 v107, v112, v179
	v_fma_f32 v179, v177, v209, -v229
	v_fmac_f32_e32 v180, v178, v209
	v_fma_f32 v209, v199, v213, -v233
	v_fmac_f32_e32 v210, v200, v213
	v_fmac_f32_e32 v212, v116, v217
	v_fma_f32 v116, v203, v215, -v235
	v_fmac_f32_e32 v117, v204, v215
	v_fma_f32 v215, v109, v223, -v237
	;; [unrolled: 2-line block ×5, first 2 shown]
	v_fma_f32 v217, v201, v225, -v224
	v_fmac_f32_e32 v218, v202, v225
	v_fma_f32 v213, v197, v221, -v236
	v_fmac_f32_e32 v214, v198, v221
	;; [unrolled: 2-line block ×4, first 2 shown]
	ds_write2_b64 v95, v[106:107], v[209:210] offset0:16 offset1:141
	ds_write2_b64 v99, v[179:180], v[116:117] offset0:48 offset1:173
	;; [unrolled: 1-line block ×7, first 2 shown]
	s_and_saveexec_b32 s1, vcc_lo
	s_cbranch_execz .LBB0_17
; %bb.16:
	v_add_co_u32 v94, s0, 0x800, v92
	v_add_co_ci_u32_e64 v95, s0, 0, v93, s0
	v_add_co_u32 v96, s0, 0x1800, v92
	v_add_co_ci_u32_e64 v97, s0, 0, v93, s0
	;; [unrolled: 2-line block ×4, first 2 shown]
	v_add_co_u32 v92, s0, 0x3800, v92
	s_clause 0x1
	global_load_dwordx2 v[94:95], v[94:95], off offset:952
	global_load_dwordx2 v[96:97], v[96:97], off offset:56
	v_add_co_ci_u32_e64 v93, s0, 0, v93, s0
	s_clause 0x2
	global_load_dwordx2 v[98:99], v[98:99], off offset:1208
	global_load_dwordx2 v[106:107], v[106:107], off offset:312
	;; [unrolled: 1-line block ×3, first 2 shown]
	ds_read_b64 v[109:110], v181 offset:3000
	ds_read_b64 v[111:112], v181 offset:6200
	;; [unrolled: 1-line block ×5, first 2 shown]
	s_waitcnt vmcnt(4) lgkmcnt(4)
	v_mul_f32_e32 v103, v110, v95
	v_mul_f32_e32 v172, v109, v95
	s_waitcnt vmcnt(3) lgkmcnt(3)
	v_mul_f32_e32 v119, v112, v97
	v_mul_f32_e32 v95, v111, v97
	;; [unrolled: 3-line block ×5, first 2 shown]
	v_fma_f32 v171, v109, v94, -v103
	v_fmac_f32_e32 v172, v110, v94
	v_fma_f32 v94, v111, v96, -v119
	v_fmac_f32_e32 v95, v112, v96
	v_fma_f32 v96, v113, v98, -v175
	v_fmac_f32_e32 v97, v114, v98
	v_fma_f32 v98, v115, v106, -v176
	v_fmac_f32_e32 v99, v116, v106
	v_fma_f32 v106, v117, v92, -v177
	v_fmac_f32_e32 v107, v118, v92
	ds_write_b64 v181, v[171:172] offset:3000
	ds_write_b64 v181, v[94:95] offset:6200
	;; [unrolled: 1-line block ×5, first 2 shown]
.LBB0_17:
	s_or_b32 exec_lo, exec_lo, s1
	s_waitcnt lgkmcnt(0)
	s_barrier
	buffer_gl0_inv
	ds_read2_b64 v[92:95], v181 offset1:125
	ds_read2_b64 v[96:99], v102 offset0:58 offset1:208
	ds_read2_b64 v[112:115], v101 offset0:32 offset1:157
	;; [unrolled: 1-line block ×6, first 2 shown]
	ds_read_b64 v[171:172], v181 offset:14800
	s_and_saveexec_b32 s0, vcc_lo
	s_cbranch_execz .LBB0_19
; %bb.18:
	ds_read_b64 v[173:174], v181 offset:3000
	ds_read_b64 v[167:168], v181 offset:6200
	ds_read_b64 v[169:170], v181 offset:9400
	ds_read_b64 v[165:166], v181 offset:12600
	ds_read_b64 v[163:164], v181 offset:15800
.LBB0_19:
	s_or_b32 exec_lo, exec_lo, s0
	s_waitcnt lgkmcnt(6)
	v_add_f32_e32 v176, v92, v98
	s_waitcnt lgkmcnt(4)
	v_add_f32_e32 v175, v112, v102
	s_waitcnt lgkmcnt(3)
	v_sub_f32_e32 v177, v99, v117
	v_sub_f32_e32 v178, v113, v103
	;; [unrolled: 1-line block ×3, first 2 shown]
	v_add_f32_e32 v176, v176, v112
	v_fma_f32 v195, -0.5, v175, v92
	v_sub_f32_e32 v175, v116, v102
	v_add_f32_e32 v180, v98, v116
	v_sub_f32_e32 v196, v112, v98
	v_add_f32_e32 v176, v176, v102
	v_fmamk_f32 v197, v177, 0xbf737871, v195
	v_fmac_f32_e32 v195, 0x3f737871, v177
	v_add_f32_e32 v175, v179, v175
	v_fma_f32 v92, -0.5, v180, v92
	v_add_f32_e32 v201, v176, v116
	v_add_f32_e32 v176, v93, v99
	v_fmac_f32_e32 v197, 0xbf167918, v178
	v_sub_f32_e32 v179, v102, v116
	v_fmac_f32_e32 v195, 0x3f167918, v178
	v_add_f32_e32 v180, v113, v103
	v_add_f32_e32 v176, v176, v113
	v_fmac_f32_e32 v197, 0x3e9e377a, v175
	v_add_f32_e32 v179, v196, v179
	v_sub_f32_e32 v116, v98, v116
	v_fma_f32 v196, -0.5, v180, v93
	v_fmac_f32_e32 v195, 0x3e9e377a, v175
	v_add_f32_e32 v98, v176, v103
	v_add_f32_e32 v175, v99, v117
	v_sub_f32_e32 v102, v112, v102
	v_fmamk_f32 v198, v116, 0x3f737871, v196
	v_sub_f32_e32 v112, v99, v113
	v_sub_f32_e32 v176, v117, v103
	v_fma_f32 v93, -0.5, v175, v93
	v_add_f32_e32 v202, v98, v117
	v_fmac_f32_e32 v196, 0xbf737871, v116
	v_sub_f32_e32 v98, v113, v99
	v_sub_f32_e32 v99, v103, v117
	s_waitcnt lgkmcnt(1)
	v_add_f32_e32 v103, v114, v108
	v_fmac_f32_e32 v198, 0x3f167918, v102
	v_add_f32_e32 v112, v112, v176
	v_fmamk_f32 v200, v102, 0xbf737871, v93
	v_fmac_f32_e32 v196, 0xbf167918, v102
	v_add_f32_e32 v99, v98, v99
	v_add_f32_e32 v113, v94, v104
	v_fma_f32 v98, -0.5, v103, v94
	v_sub_f32_e32 v103, v105, v119
	v_fmac_f32_e32 v93, 0x3f737871, v102
	v_add_f32_e32 v176, v104, v118
	v_fmamk_f32 v199, v178, 0x3f737871, v92
	v_fmac_f32_e32 v92, 0xbf737871, v178
	v_fmac_f32_e32 v198, 0x3e9e377a, v112
	;; [unrolled: 1-line block ×4, first 2 shown]
	v_add_f32_e32 v112, v113, v114
	v_fmamk_f32 v102, v103, 0xbf737871, v98
	v_sub_f32_e32 v113, v115, v109
	v_sub_f32_e32 v117, v104, v114
	;; [unrolled: 1-line block ×3, first 2 shown]
	v_fmac_f32_e32 v93, 0xbf167918, v116
	v_fma_f32 v94, -0.5, v176, v94
	v_fmac_f32_e32 v98, 0x3f737871, v103
	v_add_f32_e32 v176, v95, v105
	v_fmac_f32_e32 v199, 0xbf167918, v177
	v_fmac_f32_e32 v92, 0x3f167918, v177
	;; [unrolled: 1-line block ×3, first 2 shown]
	v_add_f32_e32 v112, v112, v108
	v_fmac_f32_e32 v102, 0xbf167918, v113
	v_add_f32_e32 v117, v117, v175
	v_fmac_f32_e32 v93, 0x3e9e377a, v99
	v_fmamk_f32 v116, v113, 0x3f737871, v94
	v_sub_f32_e32 v99, v114, v104
	v_sub_f32_e32 v175, v108, v118
	v_fmac_f32_e32 v98, 0x3f167918, v113
	v_add_f32_e32 v177, v115, v109
	v_fmac_f32_e32 v94, 0xbf737871, v113
	v_add_f32_e32 v113, v176, v115
	v_add_f32_e32 v112, v112, v118
	;; [unrolled: 1-line block ×3, first 2 shown]
	v_fma_f32 v99, -0.5, v177, v95
	v_sub_f32_e32 v118, v104, v118
	v_add_f32_e32 v104, v113, v109
	v_add_f32_e32 v113, v105, v119
	v_fmac_f32_e32 v102, 0x3e9e377a, v117
	v_fmac_f32_e32 v116, 0xbf167918, v103
	;; [unrolled: 1-line block ×4, first 2 shown]
	v_fmamk_f32 v103, v118, 0x3f737871, v99
	v_sub_f32_e32 v108, v114, v108
	v_sub_f32_e32 v114, v105, v115
	;; [unrolled: 1-line block ×3, first 2 shown]
	v_fmac_f32_e32 v95, -0.5, v113
	v_add_f32_e32 v113, v104, v119
	v_fmac_f32_e32 v99, 0xbf737871, v118
	v_sub_f32_e32 v104, v115, v105
	v_sub_f32_e32 v105, v109, v119
	v_add_f32_e32 v109, v100, v110
	v_fmac_f32_e32 v103, 0x3f167918, v108
	v_add_f32_e32 v114, v114, v117
	v_fmamk_f32 v117, v108, 0xbf737871, v95
	v_fmac_f32_e32 v99, 0xbf167918, v108
	v_add_f32_e32 v105, v104, v105
	v_add_f32_e32 v115, v96, v106
	v_fma_f32 v104, -0.5, v109, v96
	s_waitcnt lgkmcnt(0)
	v_sub_f32_e32 v109, v107, v172
	v_fmac_f32_e32 v95, 0x3f737871, v108
	v_fmac_f32_e32 v116, 0x3e9e377a, v175
	;; [unrolled: 1-line block ×6, first 2 shown]
	v_add_f32_e32 v114, v115, v100
	v_fmamk_f32 v108, v109, 0xbf737871, v104
	v_sub_f32_e32 v115, v101, v111
	v_sub_f32_e32 v119, v106, v100
	;; [unrolled: 1-line block ×3, first 2 shown]
	v_add_f32_e32 v176, v106, v171
	v_fmac_f32_e32 v95, 0xbf167918, v118
	v_fmac_f32_e32 v104, 0x3f737871, v109
	v_fmac_f32_e32 v117, 0x3e9e377a, v105
	v_fmac_f32_e32 v108, 0xbf167918, v115
	v_add_f32_e32 v119, v119, v175
	v_fma_f32 v96, -0.5, v176, v96
	v_fmac_f32_e32 v95, 0x3e9e377a, v105
	v_sub_f32_e32 v105, v100, v106
	v_sub_f32_e32 v175, v110, v171
	v_fmac_f32_e32 v104, 0x3f167918, v115
	v_add_f32_e32 v176, v97, v107
	v_add_f32_e32 v177, v101, v111
	;; [unrolled: 1-line block ×3, first 2 shown]
	v_fmac_f32_e32 v108, 0x3e9e377a, v119
	v_fmamk_f32 v118, v115, 0x3f737871, v96
	v_add_f32_e32 v175, v105, v175
	v_fmac_f32_e32 v96, 0xbf737871, v115
	v_add_f32_e32 v115, v176, v101
	v_fma_f32 v105, -0.5, v177, v97
	v_sub_f32_e32 v106, v106, v171
	v_fmac_f32_e32 v104, 0x3e9e377a, v119
	v_add_f32_e32 v119, v107, v172
	v_add_f32_e32 v114, v114, v171
	v_fmac_f32_e32 v118, 0xbf167918, v109
	v_fmac_f32_e32 v96, 0x3f167918, v109
	v_add_f32_e32 v115, v115, v111
	v_fmamk_f32 v109, v106, 0x3f737871, v105
	v_sub_f32_e32 v100, v100, v110
	v_sub_f32_e32 v110, v107, v101
	;; [unrolled: 1-line block ×3, first 2 shown]
	v_fmac_f32_e32 v97, -0.5, v119
	v_fmac_f32_e32 v105, 0xbf737871, v106
	v_sub_f32_e32 v101, v101, v107
	v_sub_f32_e32 v107, v111, v172
	v_add_f32_e32 v111, v169, v165
	v_fmac_f32_e32 v118, 0x3e9e377a, v175
	v_fmac_f32_e32 v96, 0x3e9e377a, v175
	v_fmac_f32_e32 v109, 0x3f167918, v100
	v_add_f32_e32 v110, v110, v171
	v_fmamk_f32 v119, v100, 0xbf737871, v97
	v_fmac_f32_e32 v105, 0xbf167918, v100
	v_add_f32_e32 v101, v101, v107
	v_fmac_f32_e32 v97, 0x3f737871, v100
	v_add_f32_e32 v100, v173, v167
	v_fma_f32 v175, -0.5, v111, v173
	v_sub_f32_e32 v107, v168, v164
	v_add_f32_e32 v171, v167, v163
	v_fmac_f32_e32 v109, 0x3e9e377a, v110
	v_fmac_f32_e32 v119, 0x3f167918, v106
	;; [unrolled: 1-line block ×4, first 2 shown]
	v_add_f32_e32 v100, v100, v169
	v_fmamk_f32 v177, v107, 0xbf737871, v175
	v_sub_f32_e32 v106, v170, v166
	v_sub_f32_e32 v110, v167, v169
	;; [unrolled: 1-line block ×3, first 2 shown]
	v_fmac_f32_e32 v175, 0x3f737871, v107
	v_fmac_f32_e32 v173, -0.5, v171
	v_fmac_f32_e32 v199, 0x3e9e377a, v179
	v_fmac_f32_e32 v92, 0x3e9e377a, v179
	v_add_f32_e32 v100, v100, v165
	v_fmac_f32_e32 v177, 0xbf167918, v106
	v_add_f32_e32 v110, v110, v111
	v_fmac_f32_e32 v175, 0x3f167918, v106
	v_fmamk_f32 v179, v106, 0x3f737871, v173
	v_fmac_f32_e32 v173, 0xbf737871, v106
	v_fmac_f32_e32 v119, 0x3e9e377a, v101
	;; [unrolled: 1-line block ×3, first 2 shown]
	v_add_f32_e32 v171, v100, v163
	v_fmac_f32_e32 v177, 0x3e9e377a, v110
	v_fmac_f32_e32 v175, 0x3e9e377a, v110
	v_add_f32_e32 v100, v170, v166
	v_sub_f32_e32 v101, v169, v167
	v_sub_f32_e32 v110, v165, v163
	v_add_f32_e32 v106, v174, v168
	v_fmac_f32_e32 v179, 0xbf167918, v107
	v_fmac_f32_e32 v173, 0x3f167918, v107
	v_add_f32_e32 v107, v168, v164
	v_fma_f32 v176, -0.5, v100, v174
	v_sub_f32_e32 v100, v167, v163
	v_add_f32_e32 v101, v101, v110
	v_add_f32_e32 v106, v106, v170
	v_sub_f32_e32 v110, v169, v165
	v_fmac_f32_e32 v174, -0.5, v107
	v_fmamk_f32 v178, v100, 0x3f737871, v176
	v_fmac_f32_e32 v179, 0x3e9e377a, v101
	v_fmac_f32_e32 v173, 0x3e9e377a, v101
	v_add_f32_e32 v101, v106, v166
	v_sub_f32_e32 v106, v168, v170
	v_sub_f32_e32 v107, v164, v166
	v_fmac_f32_e32 v176, 0xbf737871, v100
	v_fmamk_f32 v180, v110, 0xbf737871, v174
	v_sub_f32_e32 v111, v170, v168
	v_sub_f32_e32 v163, v166, v164
	v_fmac_f32_e32 v174, 0x3f737871, v110
	v_fmac_f32_e32 v178, 0x3f167918, v110
	v_add_f32_e32 v106, v106, v107
	v_fmac_f32_e32 v176, 0xbf167918, v110
	v_fmac_f32_e32 v180, 0x3f167918, v100
	v_add_f32_e32 v107, v111, v163
	v_fmac_f32_e32 v174, 0xbf167918, v100
	v_add_f32_e32 v115, v115, v172
	v_add_f32_e32 v172, v101, v164
	v_fmac_f32_e32 v178, 0x3e9e377a, v106
	v_fmac_f32_e32 v176, 0x3e9e377a, v106
	;; [unrolled: 1-line block ×4, first 2 shown]
	s_barrier
	buffer_gl0_inv
	ds_write2_b64 v190, v[201:202], v[197:198] offset1:1
	ds_write2_b64 v190, v[199:200], v[92:93] offset0:2 offset1:3
	ds_write_b64 v190, v[195:196] offset:32
	ds_write2_b64 v188, v[112:113], v[102:103] offset1:1
	ds_write2_b64 v188, v[116:117], v[94:95] offset0:2 offset1:3
	ds_write_b64 v188, v[98:99] offset:32
	;; [unrolled: 3-line block ×3, first 2 shown]
	s_and_saveexec_b32 s0, vcc_lo
	s_cbranch_execz .LBB0_21
; %bb.20:
	v_lshlrev_b32_e32 v92, 3, v191
	ds_write2_b64 v92, v[171:172], v[177:178] offset1:1
	ds_write2_b64 v92, v[179:180], v[173:174] offset0:2 offset1:3
	ds_write_b64 v92, v[175:176] offset:32
.LBB0_21:
	s_or_b32 exec_lo, exec_lo, s0
	v_add_nc_u32_e32 v100, 0x1800, v181
	v_add_nc_u32_e32 v92, 0x600, v181
	;; [unrolled: 1-line block ×6, first 2 shown]
	s_waitcnt lgkmcnt(0)
	s_barrier
	buffer_gl0_inv
	ds_read2_b64 v[96:99], v181 offset1:125
	ds_read2_b64 v[92:95], v92 offset0:58 offset1:208
	ds_read2_b64 v[116:119], v100 offset0:32 offset1:157
	ds_read2_b64 v[100:103], v101 offset0:26 offset1:176
	ds_read2_b64 v[112:115], v104 offset0:64 offset1:189
	ds_read2_b64 v[108:111], v105 offset0:13 offset1:138
	ds_read2_b64 v[104:107], v106 offset0:45 offset1:170
	ds_read_b64 v[163:164], v181 offset:14800
	s_and_saveexec_b32 s0, vcc_lo
	s_cbranch_execz .LBB0_23
; %bb.22:
	ds_read_b64 v[171:172], v181 offset:3000
	ds_read_b64 v[177:178], v181 offset:6200
	;; [unrolled: 1-line block ×5, first 2 shown]
.LBB0_23:
	s_or_b32 exec_lo, exec_lo, s0
	s_waitcnt lgkmcnt(6)
	v_mul_f32_e32 v165, v33, v95
	v_mul_f32_e32 v33, v33, v94
	s_waitcnt lgkmcnt(5)
	v_mul_f32_e32 v166, v35, v117
	s_waitcnt lgkmcnt(0)
	s_barrier
	v_fmac_f32_e32 v165, v32, v94
	v_fma_f32 v32, v32, v95, -v33
	v_mul_f32_e32 v33, v35, v116
	v_mul_f32_e32 v35, v37, v103
	v_mul_f32_e32 v37, v37, v102
	v_mul_f32_e32 v94, v39, v113
	v_mul_f32_e32 v39, v39, v112
	v_fmac_f32_e32 v166, v34, v116
	v_fma_f32 v33, v34, v117, -v33
	v_fmac_f32_e32 v35, v36, v102
	v_fma_f32 v34, v36, v103, -v37
	;; [unrolled: 2-line block ×3, first 2 shown]
	v_mul_f32_e32 v37, v29, v109
	v_mul_f32_e32 v29, v29, v108
	v_mul_f32_e32 v38, v31, v119
	v_mul_f32_e32 v31, v31, v118
	v_mul_f32_e32 v39, v25, v105
	v_fmac_f32_e32 v37, v28, v108
	v_fma_f32 v28, v28, v109, -v29
	v_mul_f32_e32 v25, v25, v104
	v_fma_f32 v29, v30, v119, -v31
	v_mul_f32_e32 v31, v21, v111
	v_mul_f32_e32 v21, v21, v110
	v_fmac_f32_e32 v39, v24, v104
	v_fma_f32 v95, v24, v105, -v25
	v_mul_f32_e32 v104, v23, v101
	v_fmac_f32_e32 v31, v20, v110
	v_fma_f32 v103, v20, v111, -v21
	v_mul_f32_e32 v20, v23, v100
	v_mul_f32_e32 v105, v17, v107
	;; [unrolled: 1-line block ×3, first 2 shown]
	v_fmac_f32_e32 v104, v22, v100
	v_mul_f32_e32 v108, v19, v164
	v_fma_f32 v100, v22, v101, -v20
	v_fmac_f32_e32 v105, v16, v106
	v_fma_f32 v101, v16, v107, -v17
	v_mul_f32_e32 v106, v13, v178
	v_mul_f32_e32 v13, v13, v177
	v_mul_f32_e32 v107, v15, v180
	v_mul_f32_e32 v15, v15, v179
	v_mul_f32_e32 v16, v19, v163
	v_fmac_f32_e32 v106, v12, v177
	v_fma_f32 v110, v12, v178, -v13
	v_fmac_f32_e32 v107, v14, v179
	v_fma_f32 v111, v14, v180, -v15
	v_add_f32_e32 v12, v166, v35
	v_mul_f32_e32 v112, v9, v174
	v_mul_f32_e32 v13, v9, v173
	v_add_f32_e32 v14, v96, v165
	v_fmac_f32_e32 v108, v18, v163
	v_fma_f32 v109, v18, v164, -v16
	v_fma_f32 v9, -0.5, v12, v96
	v_sub_f32_e32 v15, v32, v36
	v_fmac_f32_e32 v112, v8, v173
	v_fma_f32 v8, v8, v174, -v13
	v_add_f32_e32 v13, v14, v166
	v_sub_f32_e32 v14, v165, v166
	v_sub_f32_e32 v16, v94, v35
	v_add_f32_e32 v18, v165, v94
	v_mul_f32_e32 v113, v11, v176
	v_fmamk_f32 v12, v15, 0xbf737871, v9
	v_sub_f32_e32 v17, v33, v34
	v_mul_f32_e32 v11, v11, v175
	v_add_f32_e32 v13, v13, v35
	v_add_f32_e32 v19, v14, v16
	v_fma_f32 v14, -0.5, v18, v96
	v_fmac_f32_e32 v9, 0x3f737871, v15
	v_fmac_f32_e32 v113, v10, v175
	v_fmac_f32_e32 v12, 0xbf167918, v17
	v_fma_f32 v11, v10, v176, -v11
	v_add_f32_e32 v16, v13, v94
	v_fmamk_f32 v18, v17, 0x3f737871, v14
	v_sub_f32_e32 v10, v166, v165
	v_sub_f32_e32 v13, v35, v94
	v_fmac_f32_e32 v9, 0x3f167918, v17
	v_add_f32_e32 v20, v97, v32
	v_add_f32_e32 v21, v33, v34
	v_fmac_f32_e32 v14, 0xbf737871, v17
	v_fmac_f32_e32 v38, v30, v118
	v_mul_f32_e32 v30, v27, v115
	v_mul_f32_e32 v27, v27, v114
	v_fmac_f32_e32 v12, 0x3e9e377a, v19
	v_fmac_f32_e32 v18, 0xbf167918, v15
	v_add_f32_e32 v22, v10, v13
	v_add_f32_e32 v13, v20, v33
	v_fma_f32 v10, -0.5, v21, v97
	v_sub_f32_e32 v21, v165, v94
	v_fmac_f32_e32 v9, 0x3e9e377a, v19
	v_fmac_f32_e32 v14, 0x3f167918, v15
	v_sub_f32_e32 v19, v32, v33
	v_sub_f32_e32 v20, v36, v34
	v_fmac_f32_e32 v30, v26, v114
	v_fma_f32 v102, v26, v115, -v27
	v_fmac_f32_e32 v18, 0x3e9e377a, v22
	v_add_f32_e32 v17, v13, v34
	v_fmamk_f32 v13, v21, 0x3f737871, v10
	v_add_f32_e32 v15, v32, v36
	v_sub_f32_e32 v23, v166, v35
	v_fmac_f32_e32 v14, 0x3e9e377a, v22
	v_add_f32_e32 v22, v19, v20
	v_fmac_f32_e32 v10, 0xbf737871, v21
	v_sub_f32_e32 v20, v33, v32
	v_sub_f32_e32 v24, v34, v36
	v_add_f32_e32 v25, v38, v39
	v_fma_f32 v15, -0.5, v15, v97
	v_fmac_f32_e32 v13, 0x3f167918, v23
	v_fmac_f32_e32 v10, 0xbf167918, v23
	v_add_f32_e32 v24, v20, v24
	v_add_f32_e32 v26, v98, v37
	v_fma_f32 v20, -0.5, v25, v98
	v_sub_f32_e32 v25, v28, v102
	v_add_f32_e32 v33, v37, v30
	v_fmamk_f32 v19, v23, 0xbf737871, v15
	v_fmac_f32_e32 v13, 0x3e9e377a, v22
	v_fmac_f32_e32 v10, 0x3e9e377a, v22
	;; [unrolled: 1-line block ×3, first 2 shown]
	v_add_f32_e32 v23, v26, v38
	v_fmamk_f32 v22, v25, 0xbf737871, v20
	v_sub_f32_e32 v27, v29, v95
	v_sub_f32_e32 v26, v37, v38
	;; [unrolled: 1-line block ×3, first 2 shown]
	v_fma_f32 v98, -0.5, v33, v98
	v_fmac_f32_e32 v20, 0x3f737871, v25
	v_add_f32_e32 v33, v99, v28
	v_fmac_f32_e32 v19, 0x3f167918, v21
	v_fmac_f32_e32 v15, 0xbf167918, v21
	v_add_f32_e32 v21, v23, v39
	v_fmac_f32_e32 v22, 0xbf167918, v27
	v_add_f32_e32 v23, v26, v32
	v_fmamk_f32 v26, v27, 0x3f737871, v98
	v_fmac_f32_e32 v20, 0x3f167918, v27
	v_fmac_f32_e32 v98, 0xbf737871, v27
	v_add_f32_e32 v27, v33, v29
	v_fmac_f32_e32 v19, 0x3e9e377a, v24
	v_fmac_f32_e32 v15, 0x3e9e377a, v24
	v_add_f32_e32 v24, v21, v30
	v_sub_f32_e32 v21, v38, v37
	v_sub_f32_e32 v32, v39, v30
	v_add_f32_e32 v34, v29, v95
	v_fmac_f32_e32 v26, 0xbf167918, v25
	v_fmac_f32_e32 v98, 0x3f167918, v25
	v_add_f32_e32 v25, v27, v95
	v_add_f32_e32 v27, v28, v102
	v_add_f32_e32 v32, v21, v32
	v_fma_f32 v21, -0.5, v34, v99
	v_sub_f32_e32 v33, v37, v30
	v_sub_f32_e32 v30, v38, v39
	v_sub_f32_e32 v34, v28, v29
	v_sub_f32_e32 v35, v102, v95
	v_fmac_f32_e32 v99, -0.5, v27
	v_fmac_f32_e32 v22, 0x3e9e377a, v23
	v_fmac_f32_e32 v20, 0x3e9e377a, v23
	;; [unrolled: 1-line block ×3, first 2 shown]
	v_fmamk_f32 v23, v33, 0x3f737871, v21
	v_fmac_f32_e32 v98, 0x3e9e377a, v32
	v_add_f32_e32 v32, v34, v35
	v_fmac_f32_e32 v21, 0xbf737871, v33
	v_fmamk_f32 v27, v30, 0xbf737871, v99
	v_sub_f32_e32 v28, v29, v28
	v_sub_f32_e32 v29, v95, v102
	v_add_f32_e32 v34, v104, v105
	v_fmac_f32_e32 v99, 0x3f737871, v30
	v_add_f32_e32 v17, v17, v36
	v_fmac_f32_e32 v23, 0x3f167918, v30
	v_fmac_f32_e32 v21, 0xbf167918, v30
	;; [unrolled: 1-line block ×3, first 2 shown]
	v_add_f32_e32 v29, v28, v29
	v_add_f32_e32 v35, v92, v31
	v_fma_f32 v28, -0.5, v34, v92
	v_sub_f32_e32 v36, v103, v109
	v_sub_f32_e32 v34, v31, v104
	;; [unrolled: 1-line block ×3, first 2 shown]
	v_add_f32_e32 v38, v31, v108
	v_fmac_f32_e32 v99, 0xbf167918, v33
	v_fmac_f32_e32 v23, 0x3e9e377a, v32
	;; [unrolled: 1-line block ×4, first 2 shown]
	v_add_f32_e32 v32, v35, v104
	v_fmamk_f32 v30, v36, 0xbf737871, v28
	v_sub_f32_e32 v35, v100, v101
	v_add_f32_e32 v33, v34, v37
	v_fma_f32 v92, -0.5, v38, v92
	v_fmac_f32_e32 v99, 0x3e9e377a, v29
	v_fmac_f32_e32 v28, 0x3f737871, v36
	v_sub_f32_e32 v29, v104, v31
	v_sub_f32_e32 v37, v105, v108
	v_add_f32_e32 v38, v93, v103
	v_add_f32_e32 v39, v100, v101
	v_fmac_f32_e32 v30, 0xbf167918, v35
	v_fmamk_f32 v34, v35, 0x3f737871, v92
	v_fmac_f32_e32 v28, 0x3f167918, v35
	v_add_f32_e32 v37, v29, v37
	v_fmac_f32_e32 v92, 0xbf737871, v35
	v_add_f32_e32 v35, v38, v100
	v_fma_f32 v29, -0.5, v39, v93
	v_sub_f32_e32 v38, v31, v108
	v_fmac_f32_e32 v30, 0x3e9e377a, v33
	v_fmac_f32_e32 v34, 0xbf167918, v36
	;; [unrolled: 1-line block ×4, first 2 shown]
	v_add_f32_e32 v33, v35, v101
	v_fmamk_f32 v31, v38, 0x3f737871, v29
	v_add_f32_e32 v35, v103, v109
	v_sub_f32_e32 v36, v104, v105
	v_sub_f32_e32 v39, v103, v100
	;; [unrolled: 1-line block ×3, first 2 shown]
	v_fmac_f32_e32 v29, 0xbf737871, v38
	v_fmac_f32_e32 v34, 0x3e9e377a, v37
	;; [unrolled: 1-line block ×3, first 2 shown]
	v_fmac_f32_e32 v93, -0.5, v35
	v_fmac_f32_e32 v31, 0x3f167918, v36
	v_add_f32_e32 v37, v39, v94
	v_sub_f32_e32 v39, v100, v103
	v_sub_f32_e32 v94, v101, v109
	v_fmac_f32_e32 v29, 0xbf167918, v36
	v_add_f32_e32 v95, v107, v112
	v_add_f32_e32 v100, v106, v113
	v_fmamk_f32 v35, v36, 0xbf737871, v93
	v_fmac_f32_e32 v31, 0x3e9e377a, v37
	v_add_f32_e32 v39, v39, v94
	v_fmac_f32_e32 v93, 0x3f737871, v36
	v_add_f32_e32 v36, v171, v106
	v_fma_f32 v94, -0.5, v95, v171
	v_sub_f32_e32 v97, v110, v11
	v_fmac_f32_e32 v29, 0x3e9e377a, v37
	v_sub_f32_e32 v37, v111, v8
	v_sub_f32_e32 v95, v106, v107
	;; [unrolled: 1-line block ×3, first 2 shown]
	v_fmac_f32_e32 v171, -0.5, v100
	v_fmac_f32_e32 v35, 0x3f167918, v38
	v_fmac_f32_e32 v93, 0xbf167918, v38
	v_fmamk_f32 v38, v97, 0xbf737871, v94
	v_fmac_f32_e32 v94, 0x3f737871, v97
	v_add_f32_e32 v95, v95, v96
	v_fmamk_f32 v96, v37, 0x3f737871, v171
	v_fmac_f32_e32 v171, 0xbf737871, v37
	v_fmac_f32_e32 v35, 0x3e9e377a, v39
	;; [unrolled: 1-line block ×5, first 2 shown]
	v_add_f32_e32 v39, v111, v8
	v_sub_f32_e32 v100, v107, v106
	v_sub_f32_e32 v101, v112, v113
	v_add_f32_e32 v37, v172, v110
	v_fmac_f32_e32 v96, 0xbf167918, v97
	v_fmac_f32_e32 v171, 0x3f167918, v97
	v_add_f32_e32 v97, v110, v11
	v_add_f32_e32 v25, v25, v102
	v_fmac_f32_e32 v38, 0x3e9e377a, v95
	v_fmac_f32_e32 v94, 0x3e9e377a, v95
	v_fma_f32 v95, -0.5, v39, v172
	v_sub_f32_e32 v102, v106, v113
	v_add_f32_e32 v100, v100, v101
	v_add_f32_e32 v37, v37, v111
	v_sub_f32_e32 v101, v107, v112
	v_fmac_f32_e32 v172, -0.5, v97
	v_add_f32_e32 v36, v36, v107
	v_fmamk_f32 v39, v102, 0x3f737871, v95
	v_fmac_f32_e32 v96, 0x3e9e377a, v100
	v_fmac_f32_e32 v171, 0x3e9e377a, v100
	v_add_f32_e32 v37, v37, v8
	v_sub_f32_e32 v100, v110, v111
	v_sub_f32_e32 v103, v11, v8
	v_fmac_f32_e32 v95, 0xbf737871, v102
	v_fmamk_f32 v97, v101, 0xbf737871, v172
	v_sub_f32_e32 v104, v111, v110
	v_sub_f32_e32 v8, v8, v11
	v_fmac_f32_e32 v172, 0x3f737871, v101
	v_add_f32_e32 v36, v36, v112
	v_fmac_f32_e32 v39, 0x3f167918, v101
	v_add_f32_e32 v100, v100, v103
	v_fmac_f32_e32 v95, 0xbf167918, v101
	v_fmac_f32_e32 v97, 0x3f167918, v102
	v_add_f32_e32 v8, v104, v8
	v_fmac_f32_e32 v172, 0xbf167918, v102
	v_add_f32_e32 v32, v32, v105
	v_add_f32_e32 v36, v36, v113
	;; [unrolled: 1-line block ×3, first 2 shown]
	v_fmac_f32_e32 v39, 0x3e9e377a, v100
	v_fmac_f32_e32 v95, 0x3e9e377a, v100
	;; [unrolled: 1-line block ×4, first 2 shown]
	v_add_f32_e32 v32, v32, v108
	v_add_f32_e32 v33, v33, v109
	buffer_gl0_inv
	ds_write2_b64 v187, v[16:17], v[12:13] offset1:5
	ds_write2_b64 v187, v[18:19], v[14:15] offset0:10 offset1:15
	ds_write_b64 v187, v[9:10] offset:160
	ds_write2_b64 v186, v[24:25], v[22:23] offset1:5
	ds_write2_b64 v186, v[26:27], v[98:99] offset0:10 offset1:15
	ds_write_b64 v186, v[20:21] offset:160
	;; [unrolled: 3-line block ×3, first 2 shown]
	s_and_saveexec_b32 s0, vcc_lo
	s_cbranch_execz .LBB0_25
; %bb.24:
	v_mov_b32_e32 v8, 3
	v_lshlrev_b32_sdwa v8, v8, v184 dst_sel:DWORD dst_unused:UNUSED_PAD src0_sel:DWORD src1_sel:WORD_0
	ds_write2_b64 v8, v[36:37], v[38:39] offset1:5
	ds_write2_b64 v8, v[96:97], v[171:172] offset0:10 offset1:15
	ds_write_b64 v8, v[94:95] offset:160
.LBB0_25:
	s_or_b32 exec_lo, exec_lo, s0
	v_add_nc_u32_e32 v16, 0x1800, v181
	v_add_nc_u32_e32 v8, 0x600, v181
	;; [unrolled: 1-line block ×6, first 2 shown]
	s_waitcnt lgkmcnt(0)
	s_barrier
	buffer_gl0_inv
	ds_read2_b64 v[12:15], v181 offset1:125
	ds_read2_b64 v[8:11], v8 offset0:58 offset1:208
	ds_read2_b64 v[32:35], v16 offset0:32 offset1:157
	;; [unrolled: 1-line block ×6, first 2 shown]
	ds_read_b64 v[92:93], v181 offset:14800
	s_and_saveexec_b32 s0, vcc_lo
	s_cbranch_execz .LBB0_27
; %bb.26:
	ds_read_b64 v[36:37], v181 offset:3000
	ds_read_b64 v[38:39], v181 offset:6200
	;; [unrolled: 1-line block ×5, first 2 shown]
.LBB0_27:
	s_or_b32 exec_lo, exec_lo, s0
	s_waitcnt lgkmcnt(6)
	v_mul_f32_e32 v98, v57, v11
	v_mul_f32_e32 v57, v57, v10
	s_waitcnt lgkmcnt(5)
	v_mul_f32_e32 v99, v59, v33
	v_mul_f32_e32 v59, v59, v32
	s_waitcnt lgkmcnt(4)
	v_mul_f32_e32 v100, v49, v23
	v_fmac_f32_e32 v98, v56, v10
	v_fma_f32 v56, v56, v11, -v57
	v_fmac_f32_e32 v99, v58, v32
	v_fma_f32 v32, v58, v33, -v59
	v_fmac_f32_e32 v100, v48, v22
	v_mul_f32_e32 v10, v49, v22
	s_waitcnt lgkmcnt(3)
	v_mul_f32_e32 v22, v51, v29
	v_mul_f32_e32 v11, v51, v28
	s_waitcnt lgkmcnt(2)
	v_mul_f32_e32 v33, v45, v25
	v_mul_f32_e32 v45, v45, v24
	v_fma_f32 v23, v48, v23, -v10
	v_fmac_f32_e32 v22, v50, v28
	v_fma_f32 v28, v50, v29, -v11
	v_fmac_f32_e32 v33, v44, v24
	v_fma_f32 v44, v44, v25, -v45
	v_mul_f32_e32 v29, v47, v35
	v_mul_f32_e32 v10, v47, v34
	s_waitcnt lgkmcnt(1)
	v_mul_f32_e32 v45, v41, v17
	v_mul_f32_e32 v11, v41, v16
	;; [unrolled: 1-line block ×3, first 2 shown]
	v_fmac_f32_e32 v29, v46, v34
	v_fma_f32 v34, v46, v35, -v10
	v_fmac_f32_e32 v45, v40, v16
	v_fma_f32 v35, v40, v17, -v11
	v_mul_f32_e32 v10, v43, v30
	v_mul_f32_e32 v11, v61, v26
	;; [unrolled: 1-line block ×3, first 2 shown]
	v_fmac_f32_e32 v25, v42, v30
	v_mul_f32_e32 v43, v63, v21
	v_fma_f32 v30, v42, v31, -v10
	v_fma_f32 v42, v60, v27, -v11
	;; [unrolled: 1-line block ×3, first 2 shown]
	v_add_f32_e32 v10, v99, v100
	v_mul_f32_e32 v11, v53, v18
	v_add_f32_e32 v16, v12, v98
	v_mul_f32_e32 v47, v53, v19
	v_sub_f32_e32 v17, v56, v28
	v_fma_f32 v10, -0.5, v10, v12
	v_fma_f32 v49, v52, v19, -v11
	v_add_f32_e32 v11, v16, v99
	v_add_f32_e32 v21, v98, v22
	s_waitcnt lgkmcnt(0)
	v_mul_f32_e32 v24, v55, v92
	v_mul_f32_e32 v41, v61, v27
	v_fmac_f32_e32 v43, v62, v20
	v_fmac_f32_e32 v47, v52, v18
	v_fmamk_f32 v16, v17, 0xbf737871, v10
	v_sub_f32_e32 v19, v32, v23
	v_sub_f32_e32 v18, v98, v99
	;; [unrolled: 1-line block ×3, first 2 shown]
	v_add_f32_e32 v11, v11, v100
	v_fma_f32 v12, -0.5, v21, v12
	v_fma_f32 v50, v54, v93, -v24
	v_fmac_f32_e32 v10, 0x3f737871, v17
	v_add_f32_e32 v24, v13, v56
	v_fmac_f32_e32 v41, v60, v26
	v_fmac_f32_e32 v16, 0xbf167918, v19
	v_add_f32_e32 v26, v18, v20
	v_add_f32_e32 v18, v11, v22
	v_fmamk_f32 v20, v19, 0x3f737871, v12
	v_sub_f32_e32 v11, v99, v98
	v_sub_f32_e32 v21, v100, v22
	v_fmac_f32_e32 v10, 0x3f167918, v19
	v_add_f32_e32 v27, v32, v23
	v_fmac_f32_e32 v12, 0xbf737871, v19
	v_add_f32_e32 v19, v24, v32
	v_add_f32_e32 v21, v11, v21
	v_fmac_f32_e32 v16, 0x3e9e377a, v26
	v_fma_f32 v11, -0.5, v27, v13
	v_sub_f32_e32 v27, v98, v22
	v_add_f32_e32 v19, v19, v23
	v_add_f32_e32 v22, v56, v28
	v_fmac_f32_e32 v20, 0xbf167918, v17
	v_fmac_f32_e32 v10, 0x3e9e377a, v26
	v_fmac_f32_e32 v12, 0x3f167918, v17
	v_fmamk_f32 v17, v27, 0x3f737871, v11
	v_sub_f32_e32 v24, v99, v100
	v_sub_f32_e32 v26, v56, v32
	v_sub_f32_e32 v31, v28, v23
	v_fma_f32 v13, -0.5, v22, v13
	v_add_f32_e32 v19, v19, v28
	v_fmac_f32_e32 v11, 0xbf737871, v27
	v_sub_f32_e32 v22, v32, v56
	v_sub_f32_e32 v23, v23, v28
	v_add_f32_e32 v28, v29, v45
	v_fmac_f32_e32 v20, 0x3e9e377a, v21
	v_fmac_f32_e32 v12, 0x3e9e377a, v21
	;; [unrolled: 1-line block ×3, first 2 shown]
	v_add_f32_e32 v26, v26, v31
	v_fmamk_f32 v21, v24, 0xbf737871, v13
	v_fmac_f32_e32 v11, 0xbf167918, v24
	v_add_f32_e32 v23, v22, v23
	v_add_f32_e32 v31, v14, v33
	v_fma_f32 v22, -0.5, v28, v14
	v_sub_f32_e32 v32, v44, v30
	v_fmac_f32_e32 v13, 0x3f737871, v24
	v_add_f32_e32 v51, v33, v25
	v_fmac_f32_e32 v17, 0x3e9e377a, v26
	v_fmac_f32_e32 v21, 0x3f167918, v27
	;; [unrolled: 1-line block ×3, first 2 shown]
	v_add_f32_e32 v26, v31, v29
	v_fmamk_f32 v24, v32, 0xbf737871, v22
	v_sub_f32_e32 v31, v34, v35
	v_sub_f32_e32 v28, v33, v29
	;; [unrolled: 1-line block ×3, first 2 shown]
	v_fmac_f32_e32 v13, 0xbf167918, v27
	v_fma_f32 v14, -0.5, v51, v14
	v_fmac_f32_e32 v22, 0x3f737871, v32
	v_add_f32_e32 v51, v15, v44
	v_fmac_f32_e32 v21, 0x3e9e377a, v23
	v_fmac_f32_e32 v24, 0xbf167918, v31
	v_add_f32_e32 v27, v28, v40
	v_fmac_f32_e32 v13, 0x3e9e377a, v23
	v_fmamk_f32 v28, v31, 0x3f737871, v14
	v_sub_f32_e32 v23, v29, v33
	v_sub_f32_e32 v40, v45, v25
	v_fmac_f32_e32 v22, 0x3f167918, v31
	v_add_f32_e32 v52, v34, v35
	v_fmac_f32_e32 v14, 0xbf737871, v31
	v_add_f32_e32 v31, v51, v34
	v_add_f32_e32 v26, v26, v45
	v_fmac_f32_e32 v24, 0x3e9e377a, v27
	v_add_f32_e32 v40, v23, v40
	v_fma_f32 v23, -0.5, v52, v15
	v_sub_f32_e32 v33, v33, v25
	v_fmac_f32_e32 v22, 0x3e9e377a, v27
	v_add_f32_e32 v27, v31, v35
	v_add_f32_e32 v31, v44, v30
	v_mul_f32_e32 v48, v55, v93
	v_add_f32_e32 v26, v26, v25
	v_fmac_f32_e32 v28, 0xbf167918, v32
	v_fmac_f32_e32 v14, 0x3f167918, v32
	v_fmamk_f32 v25, v33, 0x3f737871, v23
	v_sub_f32_e32 v32, v29, v45
	v_sub_f32_e32 v29, v44, v34
	;; [unrolled: 1-line block ×3, first 2 shown]
	v_fmac_f32_e32 v15, -0.5, v31
	v_add_f32_e32 v27, v27, v30
	v_fmac_f32_e32 v23, 0xbf737871, v33
	v_sub_f32_e32 v34, v34, v44
	v_sub_f32_e32 v30, v35, v30
	v_add_f32_e32 v35, v43, v47
	v_fmac_f32_e32 v48, v54, v92
	v_fmac_f32_e32 v25, 0x3f167918, v32
	v_add_f32_e32 v31, v29, v45
	v_fmamk_f32 v29, v32, 0xbf737871, v15
	v_fmac_f32_e32 v23, 0xbf167918, v32
	v_add_f32_e32 v34, v34, v30
	v_fmac_f32_e32 v15, 0x3f737871, v32
	v_add_f32_e32 v32, v8, v41
	v_fma_f32 v30, -0.5, v35, v8
	v_sub_f32_e32 v35, v42, v50
	v_fmac_f32_e32 v28, 0x3e9e377a, v40
	v_fmac_f32_e32 v14, 0x3e9e377a, v40
	;; [unrolled: 1-line block ×6, first 2 shown]
	v_add_f32_e32 v31, v32, v43
	v_fmamk_f32 v32, v35, 0xbf737871, v30
	v_sub_f32_e32 v33, v46, v49
	v_sub_f32_e32 v40, v41, v43
	;; [unrolled: 1-line block ×3, first 2 shown]
	v_fmac_f32_e32 v30, 0x3f737871, v35
	v_add_f32_e32 v45, v41, v48
	v_add_f32_e32 v31, v31, v47
	v_fmac_f32_e32 v32, 0xbf167918, v33
	v_add_f32_e32 v40, v40, v44
	v_fmac_f32_e32 v30, 0x3f167918, v33
	v_fma_f32 v8, -0.5, v45, v8
	v_sub_f32_e32 v44, v43, v41
	v_sub_f32_e32 v45, v47, v48
	v_fmac_f32_e32 v29, 0x3e9e377a, v34
	v_fmac_f32_e32 v15, 0x3e9e377a, v34
	v_add_f32_e32 v34, v31, v48
	v_fmac_f32_e32 v32, 0x3e9e377a, v40
	v_fmac_f32_e32 v30, 0x3e9e377a, v40
	v_fmamk_f32 v40, v33, 0x3f737871, v8
	v_add_f32_e32 v31, v46, v49
	v_fmac_f32_e32 v8, 0xbf737871, v33
	v_sub_f32_e32 v48, v41, v48
	v_add_f32_e32 v41, v44, v45
	v_add_f32_e32 v44, v42, v50
	;; [unrolled: 1-line block ×3, first 2 shown]
	v_fma_f32 v31, -0.5, v31, v9
	v_fmac_f32_e32 v40, 0xbf167918, v35
	v_fmac_f32_e32 v8, 0x3f167918, v35
	v_sub_f32_e32 v43, v43, v47
	v_fmac_f32_e32 v9, -0.5, v44
	v_add_f32_e32 v35, v33, v46
	v_fmamk_f32 v33, v48, 0x3f737871, v31
	v_fmac_f32_e32 v40, 0x3e9e377a, v41
	v_fmac_f32_e32 v8, 0x3e9e377a, v41
	v_sub_f32_e32 v44, v42, v46
	v_sub_f32_e32 v45, v50, v49
	v_fmac_f32_e32 v31, 0xbf737871, v48
	v_fmamk_f32 v41, v43, 0xbf737871, v9
	v_sub_f32_e32 v42, v46, v42
	v_sub_f32_e32 v46, v49, v50
	v_fmac_f32_e32 v9, 0x3f737871, v43
	v_add_f32_e32 v35, v35, v49
	v_fmac_f32_e32 v33, 0x3f167918, v43
	v_add_f32_e32 v44, v44, v45
	v_fmac_f32_e32 v31, 0xbf167918, v43
	v_fmac_f32_e32 v41, 0x3f167918, v48
	v_add_f32_e32 v42, v42, v46
	v_fmac_f32_e32 v9, 0xbf167918, v48
	v_add_f32_e32 v35, v35, v50
	v_fmac_f32_e32 v33, 0x3e9e377a, v44
	v_fmac_f32_e32 v31, 0x3e9e377a, v44
	;; [unrolled: 1-line block ×4, first 2 shown]
	s_barrier
	buffer_gl0_inv
	ds_write2_b64 v194, v[18:19], v[16:17] offset1:25
	ds_write2_b64 v194, v[20:21], v[12:13] offset0:50 offset1:75
	ds_write_b64 v194, v[10:11] offset:800
	ds_write2_b64 v193, v[26:27], v[24:25] offset1:25
	ds_write2_b64 v193, v[28:29], v[14:15] offset0:50 offset1:75
	ds_write_b64 v193, v[22:23] offset:800
	;; [unrolled: 3-line block ×3, first 2 shown]
	s_and_saveexec_b32 s0, vcc_lo
	s_cbranch_execz .LBB0_29
; %bb.28:
	v_mul_f32_e32 v8, v5, v38
	v_mul_f32_e32 v9, v3, v94
	;; [unrolled: 1-line block ×6, first 2 shown]
	v_fma_f32 v8, v4, v39, -v8
	v_fma_f32 v9, v2, v95, -v9
	;; [unrolled: 1-line block ×3, first 2 shown]
	v_mul_f32_e32 v14, v3, v95
	v_fma_f32 v15, v0, v172, -v1
	v_fmac_f32_e32 v11, v6, v96
	v_fmac_f32_e32 v12, v0, v171
	v_add_f32_e32 v6, v8, v9
	v_mul_f32_e32 v13, v5, v39
	v_fmac_f32_e32 v14, v2, v94
	v_sub_f32_e32 v0, v10, v8
	v_sub_f32_e32 v2, v15, v9
	;; [unrolled: 1-line block ×3, first 2 shown]
	v_fma_f32 v1, -0.5, v6, v37
	v_fmac_f32_e32 v13, v4, v38
	v_add_f32_e32 v5, v10, v15
	v_add_f32_e32 v0, v0, v2
	v_sub_f32_e32 v2, v8, v10
	v_sub_f32_e32 v6, v9, v15
	v_fmamk_f32 v3, v16, 0x3f737871, v1
	v_sub_f32_e32 v4, v13, v14
	v_fmac_f32_e32 v1, 0xbf737871, v16
	v_fma_f32 v5, -0.5, v5, v37
	v_add_f32_e32 v6, v2, v6
	v_add_f32_e32 v2, v37, v8
	v_fmac_f32_e32 v3, 0xbf167918, v4
	v_fmac_f32_e32 v1, 0x3f167918, v4
	v_fmamk_f32 v7, v4, 0xbf737871, v5
	v_fmac_f32_e32 v5, 0x3f737871, v4
	v_add_f32_e32 v4, v2, v10
	v_sub_f32_e32 v17, v10, v15
	v_fmac_f32_e32 v3, 0x3e9e377a, v0
	v_fmac_f32_e32 v1, 0x3e9e377a, v0
	v_add_f32_e32 v0, v13, v14
	v_add_f32_e32 v4, v4, v15
	;; [unrolled: 1-line block ×3, first 2 shown]
	v_fmac_f32_e32 v7, 0xbf167918, v16
	v_sub_f32_e32 v8, v8, v9
	v_fmac_f32_e32 v5, 0x3f167918, v16
	v_add_f32_e32 v9, v4, v9
	v_fma_f32 v4, -0.5, v15, v36
	v_add_f32_e32 v15, v36, v13
	v_fma_f32 v0, -0.5, v0, v36
	v_sub_f32_e32 v10, v11, v13
	v_fmac_f32_e32 v7, 0x3e9e377a, v6
	v_fmac_f32_e32 v5, 0x3e9e377a, v6
	v_sub_f32_e32 v13, v13, v11
	v_sub_f32_e32 v16, v14, v12
	v_fmamk_f32 v6, v8, 0x3f737871, v4
	v_fmac_f32_e32 v4, 0xbf737871, v8
	v_add_f32_e32 v11, v15, v11
	v_mov_b32_e32 v15, 3
	v_sub_f32_e32 v18, v12, v14
	v_fmamk_f32 v2, v17, 0xbf737871, v0
	v_fmac_f32_e32 v0, 0x3f737871, v17
	v_add_f32_e32 v13, v13, v16
	v_fmac_f32_e32 v4, 0xbf167918, v17
	v_add_f32_e32 v11, v11, v12
	v_lshlrev_b32_sdwa v12, v15, v183 dst_sel:DWORD dst_unused:UNUSED_PAD src0_sel:DWORD src1_sel:WORD_0
	v_add_f32_e32 v10, v10, v18
	v_fmac_f32_e32 v2, 0x3f167918, v8
	v_fmac_f32_e32 v0, 0xbf167918, v8
	;; [unrolled: 1-line block ×4, first 2 shown]
	v_add_f32_e32 v8, v11, v14
	v_add_nc_u32_e32 v11, 0x3800, v12
	v_fmac_f32_e32 v2, 0x3e9e377a, v10
	v_fmac_f32_e32 v0, 0x3e9e377a, v10
	;; [unrolled: 1-line block ×3, first 2 shown]
	ds_write2_b64 v11, v[8:9], v[4:5] offset0:83 offset1:108
	ds_write2_b64 v11, v[0:1], v[2:3] offset0:133 offset1:158
	ds_write_b64 v12, v[6:7] offset:15800
.LBB0_29:
	s_or_b32 exec_lo, exec_lo, s0
	v_add_nc_u32_e32 v32, 0x400, v181
	v_add_nc_u32_e32 v33, 0xc00, v181
	s_waitcnt lgkmcnt(0)
	s_barrier
	buffer_gl0_inv
	ds_read2_b64 v[0:3], v181 offset1:125
	ds_read2_b64 v[4:7], v32 offset0:122 offset1:247
	ds_read2_b64 v[8:11], v33 offset0:116 offset1:241
	v_add_nc_u32_e32 v34, 0x1400, v181
	v_add_nc_u32_e32 v35, 0x1c00, v181
	ds_read2_b64 v[12:15], v34 offset0:110 offset1:235
	ds_read2_b64 v[16:19], v35 offset0:104 offset1:229
	v_add_nc_u32_e32 v36, 0x2400, v181
	v_add_nc_u32_e32 v37, 0x2c00, v181
	;; [unrolled: 1-line block ×3, first 2 shown]
	ds_read2_b64 v[20:23], v36 offset0:98 offset1:223
	ds_read2_b64 v[24:27], v37 offset0:92 offset1:217
	;; [unrolled: 1-line block ×3, first 2 shown]
	s_mov_b32 s2, 0xd2f1a9fc
	s_mov_b32 s3, 0x3f40624d
	s_mul_hi_u32 s1, s8, 0x190
	s_waitcnt lgkmcnt(7)
	v_mul_f32_e32 v39, v89, v3
	v_mul_f32_e32 v40, v89, v2
	s_waitcnt lgkmcnt(6)
	v_mul_f32_e32 v41, v81, v7
	v_mul_f32_e32 v42, v81, v6
	s_waitcnt lgkmcnt(5)
	v_mul_f32_e32 v43, v83, v9
	v_fmac_f32_e32 v39, v88, v2
	v_fma_f32 v2, v88, v3, -v40
	v_mul_f32_e32 v3, v91, v5
	v_mul_f32_e32 v40, v91, v4
	v_fmac_f32_e32 v41, v80, v6
	v_mul_f32_e32 v6, v73, v11
	v_mul_f32_e32 v44, v83, v8
	v_fmac_f32_e32 v3, v90, v4
	v_fma_f32 v4, v90, v5, -v40
	v_fma_f32 v5, v80, v7, -v42
	v_mul_f32_e32 v7, v73, v10
	v_fmac_f32_e32 v6, v72, v10
	s_waitcnt lgkmcnt(4)
	v_mul_f32_e32 v10, v75, v12
	v_fmac_f32_e32 v43, v82, v8
	v_fma_f32 v8, v82, v9, -v44
	v_mul_f32_e32 v9, v75, v13
	s_waitcnt lgkmcnt(3)
	v_mul_f32_e32 v40, v67, v17
	v_fma_f32 v10, v74, v13, -v10
	v_mul_f32_e32 v13, v67, v16
	v_fma_f32 v7, v72, v11, -v7
	v_mul_f32_e32 v11, v65, v15
	v_fmac_f32_e32 v9, v74, v12
	v_mul_f32_e32 v12, v65, v14
	v_fma_f32 v13, v66, v17, -v13
	s_waitcnt lgkmcnt(2)
	v_mul_f32_e32 v17, v87, v20
	v_fmac_f32_e32 v40, v66, v16
	v_mul_f32_e32 v16, v87, v21
	v_fmac_f32_e32 v11, v64, v14
	v_mul_f32_e32 v14, v85, v19
	v_fma_f32 v17, v86, v21, -v17
	s_waitcnt lgkmcnt(1)
	v_mul_f32_e32 v21, v79, v24
	v_fma_f32 v12, v64, v15, -v12
	v_mul_f32_e32 v15, v85, v18
	v_fmac_f32_e32 v16, v86, v20
	v_mul_f32_e32 v20, v79, v25
	v_fmac_f32_e32 v14, v84, v18
	v_mul_f32_e32 v18, v77, v23
	v_fma_f32 v21, v78, v25, -v21
	s_waitcnt lgkmcnt(0)
	v_mul_f32_e32 v25, v71, v28
	v_fma_f32 v15, v84, v19, -v15
	v_mul_f32_e32 v19, v77, v22
	v_fmac_f32_e32 v20, v78, v24
	v_mul_f32_e32 v24, v71, v29
	v_fmac_f32_e32 v18, v76, v22
	v_mul_f32_e32 v22, v69, v27
	v_fma_f32 v25, v70, v29, -v25
	v_fma_f32 v19, v76, v23, -v19
	v_mul_f32_e32 v23, v69, v26
	v_fmac_f32_e32 v24, v70, v28
	v_fmac_f32_e32 v22, v68, v26
	v_mul_f32_e32 v26, v162, v31
	v_sub_f32_e32 v28, v0, v40
	v_sub_f32_e32 v21, v8, v21
	v_sub_f32_e32 v16, v3, v16
	v_sub_f32_e32 v25, v10, v25
	v_fma_f32 v23, v68, v27, -v23
	v_mul_f32_e32 v27, v162, v30
	v_sub_f32_e32 v20, v43, v20
	v_sub_f32_e32 v24, v9, v24
	v_fmac_f32_e32 v26, v161, v30
	v_sub_f32_e32 v13, v1, v13
	v_sub_f32_e32 v17, v4, v17
	v_fma_f32 v8, v8, 2.0, -v21
	v_fma_f32 v10, v10, 2.0, -v25
	v_add_f32_e32 v21, v28, v21
	v_add_f32_e32 v25, v16, v25
	v_fma_f32 v27, v161, v31, -v27
	v_fma_f32 v0, v0, 2.0, -v28
	v_fma_f32 v29, v43, 2.0, -v20
	;; [unrolled: 1-line block ×4, first 2 shown]
	v_sub_f32_e32 v14, v39, v14
	v_sub_f32_e32 v22, v6, v22
	v_sub_f32_e32 v18, v41, v18
	v_sub_f32_e32 v26, v11, v26
	v_sub_f32_e32 v20, v13, v20
	v_fma_f32 v28, v28, 2.0, -v21
	v_sub_f32_e32 v24, v17, v24
	v_fma_f32 v16, v16, 2.0, -v25
	v_sub_f32_e32 v15, v2, v15
	v_sub_f32_e32 v19, v5, v19
	;; [unrolled: 1-line block ×5, first 2 shown]
	v_fma_f32 v1, v1, 2.0, -v13
	v_fma_f32 v4, v4, 2.0, -v17
	v_fma_f32 v30, v39, 2.0, -v14
	v_sub_f32_e32 v23, v7, v23
	v_fma_f32 v6, v6, 2.0, -v22
	v_fma_f32 v31, v41, 2.0, -v18
	;; [unrolled: 1-line block ×5, first 2 shown]
	v_fmamk_f32 v39, v16, 0xbf3504f3, v28
	v_fma_f32 v5, v5, 2.0, -v19
	v_fma_f32 v12, v12, 2.0, -v27
	;; [unrolled: 1-line block ×4, first 2 shown]
	v_sub_f32_e32 v22, v15, v22
	v_sub_f32_e32 v26, v19, v26
	v_fma_f32 v7, v7, 2.0, -v23
	v_sub_f32_e32 v10, v4, v10
	v_sub_f32_e32 v6, v30, v6
	v_add_f32_e32 v23, v14, v23
	v_sub_f32_e32 v11, v31, v11
	v_add_f32_e32 v27, v18, v27
	v_fmamk_f32 v42, v17, 0xbf3504f3, v13
	v_fmac_f32_e32 v39, 0x3f3504f3, v17
	v_fma_f32 v2, v2, 2.0, -v15
	v_sub_f32_e32 v12, v5, v12
	v_fma_f32 v15, v15, 2.0, -v22
	v_sub_f32_e32 v40, v0, v3
	;; [unrolled: 2-line block ×3, first 2 shown]
	v_fma_f32 v30, v30, 2.0, -v6
	v_fma_f32 v14, v14, 2.0, -v23
	;; [unrolled: 1-line block ×4, first 2 shown]
	v_fmac_f32_e32 v42, 0xbf3504f3, v16
	v_fma_f32 v16, v28, 2.0, -v39
	v_add_f32_e32 v28, v29, v10
	v_fmamk_f32 v45, v24, 0x3f3504f3, v20
	v_sub_f32_e32 v7, v2, v7
	v_fmamk_f32 v46, v3, 0xbf3504f3, v15
	v_add_f32_e32 v47, v6, v12
	v_fma_f32 v1, v1, 2.0, -v8
	v_fma_f32 v4, v4, 2.0, -v10
	v_fmamk_f32 v43, v25, 0x3f3504f3, v21
	v_fma_f32 v19, v29, 2.0, -v28
	v_fmac_f32_e32 v45, 0xbf3504f3, v25
	v_fmamk_f32 v25, v18, 0xbf3504f3, v14
	v_sub_f32_e32 v29, v30, v31
	v_sub_f32_e32 v44, v8, v9
	v_fmac_f32_e32 v46, 0xbf3504f3, v18
	v_sub_f32_e32 v48, v7, v11
	v_fma_f32 v11, v6, 2.0, -v47
	v_fma_f32 v2, v2, 2.0, -v7
	;; [unrolled: 1-line block ×3, first 2 shown]
	v_sub_f32_e32 v41, v1, v4
	v_fma_f32 v4, v0, 2.0, -v40
	v_fmac_f32_e32 v25, 0x3f3504f3, v3
	v_fma_f32 v0, v30, 2.0, -v29
	v_fmamk_f32 v30, v27, 0x3f3504f3, v23
	v_fmamk_f32 v49, v26, 0x3f3504f3, v22
	v_fma_f32 v13, v13, 2.0, -v42
	v_fmac_f32_e32 v43, 0x3f3504f3, v24
	v_fma_f32 v24, v8, 2.0, -v44
	v_fma_f32 v9, v15, 2.0, -v46
	;; [unrolled: 1-line block ×3, first 2 shown]
	v_fmamk_f32 v6, v11, 0xbf3504f3, v19
	v_sub_f32_e32 v31, v2, v5
	v_fma_f32 v8, v14, 2.0, -v25
	v_fmac_f32_e32 v30, 0x3f3504f3, v26
	v_fmac_f32_e32 v49, 0xbf3504f3, v27
	v_fmamk_f32 v3, v9, 0xbf6c835e, v13
	v_fmamk_f32 v7, v12, 0xbf3504f3, v24
	v_fmac_f32_e32 v6, 0x3f3504f3, v12
	v_fma_f32 v17, v1, 2.0, -v41
	v_fma_f32 v21, v21, 2.0, -v43
	;; [unrolled: 1-line block ×5, first 2 shown]
	v_fmamk_f32 v2, v8, 0xbf6c835e, v16
	v_fma_f32 v15, v22, 2.0, -v49
	v_fmac_f32_e32 v3, 0xbec3ef15, v8
	v_fmac_f32_e32 v7, 0xbf3504f3, v11
	v_fma_f32 v12, v19, 2.0, -v6
	v_fmamk_f32 v19, v46, 0x3ec3ef15, v42
	v_fmac_f32_e32 v2, 0x3ec3ef15, v9
	v_fmamk_f32 v8, v14, 0xbec3ef15, v21
	v_fmamk_f32 v9, v15, 0xbec3ef15, v20
	v_sub_f32_e32 v1, v17, v1
	v_fmamk_f32 v18, v25, 0x3ec3ef15, v39
	v_fma_f32 v11, v13, 2.0, -v3
	v_fma_f32 v13, v24, 2.0, -v7
	v_fmac_f32_e32 v19, 0xbf6c835e, v25
	v_fmamk_f32 v22, v47, 0x3f3504f3, v28
	v_fmamk_f32 v23, v48, 0x3f3504f3, v44
	;; [unrolled: 1-line block ×4, first 2 shown]
	v_sub_f32_e32 v0, v4, v0
	v_fmac_f32_e32 v8, 0x3f6c835e, v15
	v_fmac_f32_e32 v9, 0xbf6c835e, v14
	v_fma_f32 v5, v17, 2.0, -v1
	v_fma_f32 v10, v16, 2.0, -v2
	v_add_f32_e32 v16, v40, v31
	v_sub_f32_e32 v17, v41, v29
	v_fmac_f32_e32 v18, 0x3f6c835e, v46
	v_fmac_f32_e32 v22, 0x3f3504f3, v48
	v_fmac_f32_e32 v23, 0xbf3504f3, v47
	v_fmac_f32_e32 v24, 0x3ec3ef15, v49
	v_fmac_f32_e32 v25, 0xbec3ef15, v30
	v_fma_f32 v4, v4, 2.0, -v0
	v_fma_f32 v14, v21, 2.0, -v8
	;; [unrolled: 1-line block ×11, first 2 shown]
	ds_write2_b64 v181, v[4:5], v[10:11] offset1:125
	ds_write2_b64 v32, v[12:13], v[14:15] offset0:122 offset1:247
	ds_write2_b64 v33, v[20:21], v[26:27] offset0:116 offset1:241
	;; [unrolled: 1-line block ×7, first 2 shown]
	s_waitcnt lgkmcnt(0)
	s_barrier
	buffer_gl0_inv
	ds_read2_b64 v[0:3], v181 offset1:125
	v_add_nc_u32_e32 v6, 0x600, v181
	v_add_nc_u32_e32 v12, 0x2000, v181
	v_mad_u64_u32 v[24:25], null, s8, v182, 0
	s_waitcnt lgkmcnt(0)
	v_mul_f32_e32 v4, v150, v1
	v_mul_f32_e32 v5, v150, v0
	v_fmac_f32_e32 v4, v149, v0
	v_fma_f32 v8, v149, v1, -v5
	v_mad_u64_u32 v[0:1], null, s10, v138, 0
	v_cvt_f64_f32_e32 v[16:17], v4
	ds_read2_b64 v[4:7], v6 offset0:58 offset1:208
	v_cvt_f64_f32_e32 v[20:21], v8
	v_add_nc_u32_e32 v8, 0x1800, v181
	ds_read2_b64 v[8:11], v8 offset0:32 offset1:157
	ds_read2_b64 v[12:15], v12 offset0:26 offset1:176
	v_mad_u64_u32 v[18:19], null, s11, v138, v[1:2]
	v_add_nc_u32_e32 v19, 0x3000, v181
	v_mov_b32_e32 v1, v18
	s_waitcnt lgkmcnt(2)
	v_mul_f32_e32 v26, v160, v7
	v_mul_f64 v[22:23], v[16:17], s[2:3]
	ds_read2_b64 v[16:19], v19 offset0:64 offset1:189
	v_mul_f64 v[20:21], v[20:21], s[2:3]
	v_lshlrev_b64 v[0:1], 3, v[0:1]
	v_fmac_f32_e32 v26, v159, v6
	v_mul_f32_e32 v6, v160, v6
	s_waitcnt lgkmcnt(2)
	v_mul_f32_e32 v28, v158, v9
	v_mul_f32_e32 v29, v158, v8
	s_waitcnt lgkmcnt(1)
	v_mul_f32_e32 v32, v156, v15
	v_cvt_f64_f32_e32 v[26:27], v26
	v_fma_f32 v7, v159, v7, -v6
	v_fmac_f32_e32 v28, v157, v8
	v_fma_f32 v9, v157, v9, -v29
	v_mov_b32_e32 v6, v25
	v_fmac_f32_e32 v32, v155, v14
	v_cvt_f64_f32_e32 v[7:8], v7
	v_cvt_f64_f32_e32 v[28:29], v28
	;; [unrolled: 1-line block ×3, first 2 shown]
	v_mul_f32_e32 v9, v156, v14
	v_cvt_f64_f32_e32 v[32:33], v32
	s_waitcnt lgkmcnt(0)
	v_mul_f32_e32 v25, v154, v17
	v_cvt_f32_f64_e32 v14, v[22:23]
	v_fmac_f32_e32 v25, v153, v16
	v_mad_u64_u32 v[34:35], null, s9, v182, v[6:7]
	v_fma_f32 v6, v155, v15, -v9
	v_mul_f32_e32 v9, v154, v16
	v_cvt_f32_f64_e32 v15, v[20:21]
	v_mul_f64 v[20:21], v[26:27], s[2:3]
	v_mul_f32_e32 v35, v142, v3
	v_cvt_f64_f32_e32 v[22:23], v6
	v_fma_f32 v6, v153, v17, -v9
	v_cvt_f64_f32_e32 v[16:17], v25
	v_mov_b32_e32 v25, v34
	v_add_co_u32 v9, s0, s6, v0
	v_cvt_f64_f32_e32 v[26:27], v6
	v_add_co_ci_u32_e64 v34, s0, s7, v1, s0
	v_mul_f64 v[0:1], v[7:8], s[2:3]
	v_lshlrev_b64 v[6:7], 3, v[24:25]
	v_add_nc_u32_e32 v8, 0x1000, v181
	v_mul_f64 v[24:25], v[28:29], s[2:3]
	v_mul_f64 v[28:29], v[30:31], s[2:3]
	v_mul_f64 v[30:31], v[32:33], s[2:3]
	v_fmac_f32_e32 v35, v141, v2
	v_add_co_u32 v32, s0, v9, v6
	v_add_co_ci_u32_e64 v33, s0, v34, v7, s0
	ds_read2_b64 v[6:9], v8 offset0:13 offset1:138
	v_cvt_f64_f32_e32 v[34:35], v35
	v_mul_f64 v[22:23], v[22:23], s[2:3]
	v_cvt_f32_f64_e32 v20, v[20:21]
	v_mul_f64 v[16:17], v[16:17], s[2:3]
	s_mul_i32 s0, s9, 0x190
	global_store_dwordx2 v[32:33], v[14:15], off
	s_add_i32 s1, s1, s0
	v_mul_f64 v[26:27], v[26:27], s[2:3]
	s_mul_i32 s0, s8, 0x190
	v_cvt_f32_f64_e32 v21, v[0:1]
	v_mul_f32_e32 v0, v142, v2
	s_lshl_b64 s[4:5], s[0:1], 3
	v_cvt_f32_f64_e32 v24, v[24:25]
	v_add_co_u32 v36, s0, v32, s4
	v_fma_f32 v0, v141, v3, -v0
	v_cvt_f32_f64_e32 v25, v[28:29]
	v_add_co_ci_u32_e64 v37, s0, s5, v33, s0
	s_waitcnt lgkmcnt(0)
	v_mul_f32_e32 v1, v152, v7
	v_mul_f32_e32 v2, v152, v6
	v_cvt_f32_f64_e32 v28, v[30:31]
	v_cvt_f32_f64_e32 v29, v[22:23]
	v_mul_f64 v[22:23], v[34:35], s[2:3]
	v_cvt_f32_f64_e32 v16, v[16:17]
	v_fmac_f32_e32 v1, v151, v6
	v_fma_f32 v2, v151, v7, -v2
	v_cvt_f64_f32_e32 v[6:7], v0
	v_cvt_f32_f64_e32 v17, v[26:27]
	v_add_nc_u32_e32 v0, 0x2800, v181
	v_cvt_f64_f32_e32 v[26:27], v1
	v_add_co_u32 v34, s0, v36, s4
	v_cvt_f64_f32_e32 v[30:31], v2
	v_add_co_ci_u32_e64 v35, s0, s5, v37, s0
	ds_read2_b64 v[0:3], v0 offset0:45 offset1:170
	v_add_co_u32 v38, s0, v34, s4
	v_add_co_ci_u32_e64 v39, s0, s5, v35, s0
	global_store_dwordx2 v[36:37], v[20:21], off
	global_store_dwordx2 v[34:35], v[24:25], off
	;; [unrolled: 1-line block ×3, first 2 shown]
	v_add_co_u32 v14, s0, v38, s4
	v_add_co_ci_u32_e64 v15, s0, s5, v39, s0
	v_mul_f32_e32 v24, v148, v10
	s_mul_hi_u32 s1, s8, 0xfffffa3d
	v_mul_f64 v[6:7], v[6:7], s[2:3]
	global_store_dwordx2 v[14:15], v[16:17], off
	v_mul_f32_e32 v17, v148, v11
	v_mul_f64 v[20:21], v[26:27], s[2:3]
	v_cvt_f32_f64_e32 v16, v[22:23]
	v_fma_f32 v24, v147, v11, -v24
	v_mul_f64 v[22:23], v[30:31], s[2:3]
	v_fmac_f32_e32 v17, v147, v10
	s_waitcnt lgkmcnt(0)
	v_mul_f32_e32 v26, v146, v0
	v_mul_f32_e32 v25, v146, v1
	s_mul_i32 s0, s9, 0xfffffa3d
	s_sub_i32 s1, s1, s8
	v_cvt_f64_f32_e32 v[10:11], v17
	v_fma_f32 v17, v145, v1, -v26
	v_fmac_f32_e32 v25, v145, v0
	s_add_i32 s1, s1, s0
	s_mul_i32 s0, s8, 0xfffffa3d
	v_cvt_f64_f32_e32 v[0:1], v24
	v_cvt_f64_f32_e32 v[26:27], v17
	s_lshl_b64 s[6:7], s[0:1], 3
	v_cvt_f64_f32_e32 v[24:25], v25
	v_mul_f32_e32 v28, v137, v19
	v_cvt_f32_f64_e32 v17, v[6:7]
	v_add_co_u32 v6, s0, v14, s6
	v_add_co_ci_u32_e64 v7, s0, s7, v15, s0
	v_fmac_f32_e32 v28, v136, v18
	v_cvt_f32_f64_e32 v15, v[22:23]
	v_mul_f32_e32 v22, v137, v18
	v_mul_f32_e32 v30, v131, v5
	;; [unrolled: 1-line block ×5, first 2 shown]
	v_fma_f32 v29, v136, v19, -v22
	v_mul_f64 v[10:11], v[10:11], s[2:3]
	v_mul_f32_e32 v33, v133, v8
	v_fmac_f32_e32 v30, v130, v4
	v_fma_f32 v31, v130, v5, -v31
	v_mul_f64 v[0:1], v[0:1], s[2:3]
	v_mul_f64 v[22:23], v[26:27], s[2:3]
	ds_read_b64 v[26:27], v181 offset:14800
	v_mul_f64 v[18:19], v[24:25], s[2:3]
	v_cvt_f64_f32_e32 v[24:25], v28
	v_cvt_f64_f32_e32 v[28:29], v29
	v_cvt_f32_f64_e32 v14, v[20:21]
	v_fmac_f32_e32 v34, v134, v12
	v_mul_f32_e32 v12, v135, v12
	v_mul_f32_e32 v36, v140, v3
	v_mul_f32_e32 v37, v140, v2
	v_fmac_f32_e32 v32, v132, v8
	v_fma_f32 v33, v132, v9, -v33
	v_cvt_f64_f32_e32 v[4:5], v30
	v_cvt_f64_f32_e32 v[8:9], v31
	v_fma_f32 v12, v134, v13, -v12
	v_fmac_f32_e32 v36, v139, v2
	v_fma_f32 v37, v139, v3, -v37
	v_cvt_f64_f32_e32 v[30:31], v32
	v_cvt_f64_f32_e32 v[32:33], v33
	;; [unrolled: 1-line block ×4, first 2 shown]
	s_waitcnt lgkmcnt(0)
	v_mul_f32_e32 v38, v144, v27
	v_mul_f32_e32 v39, v144, v26
	v_cvt_f64_f32_e32 v[12:13], v36
	v_add_co_u32 v20, s0, v6, s4
	v_fmac_f32_e32 v38, v143, v26
	v_fma_f32 v39, v143, v27, -v39
	v_cvt_f64_f32_e32 v[26:27], v37
	v_add_co_ci_u32_e64 v21, s0, s5, v7, s0
	v_cvt_f64_f32_e32 v[36:37], v38
	v_cvt_f64_f32_e32 v[38:39], v39
	global_store_dwordx2 v[6:7], v[16:17], off
	global_store_dwordx2 v[20:21], v[14:15], off
	v_cvt_f32_f64_e32 v6, v[10:11]
	v_cvt_f32_f64_e32 v7, v[0:1]
	v_mul_f64 v[0:1], v[24:25], s[2:3]
	v_mul_f64 v[10:11], v[28:29], s[2:3]
	;; [unrolled: 1-line block ×4, first 2 shown]
	v_add_co_u32 v14, s0, v20, s4
	v_add_co_ci_u32_e64 v15, s0, s5, v21, s0
	v_cvt_f32_f64_e32 v16, v[18:19]
	v_cvt_f32_f64_e32 v17, v[22:23]
	v_mul_f64 v[18:19], v[30:31], s[2:3]
	v_mul_f64 v[20:21], v[32:33], s[2:3]
	;; [unrolled: 1-line block ×6, first 2 shown]
	v_add_co_u32 v30, s0, v14, s4
	v_mul_f64 v[26:27], v[36:37], s[2:3]
	v_mul_f64 v[28:29], v[38:39], s[2:3]
	v_add_co_ci_u32_e64 v31, s0, s5, v15, s0
	v_cvt_f32_f64_e32 v0, v[0:1]
	v_cvt_f32_f64_e32 v1, v[10:11]
	v_add_co_u32 v10, s0, v30, s4
	v_add_co_ci_u32_e64 v11, s0, s5, v31, s0
	v_cvt_f32_f64_e32 v4, v[4:5]
	v_cvt_f32_f64_e32 v5, v[8:9]
	v_add_co_u32 v8, s0, v10, s6
	v_add_co_ci_u32_e64 v9, s0, s7, v11, s0
	v_cvt_f32_f64_e32 v18, v[18:19]
	v_cvt_f32_f64_e32 v19, v[20:21]
	;; [unrolled: 1-line block ×3, first 2 shown]
	v_add_co_u32 v22, s0, v8, s4
	v_cvt_f32_f64_e32 v21, v[2:3]
	v_add_co_ci_u32_e64 v23, s0, s5, v9, s0
	v_cvt_f32_f64_e32 v2, v[12:13]
	v_cvt_f32_f64_e32 v3, v[24:25]
	;; [unrolled: 1-line block ×4, first 2 shown]
	global_store_dwordx2 v[14:15], v[6:7], off
	v_add_co_u32 v6, s0, v22, s4
	v_add_co_ci_u32_e64 v7, s0, s5, v23, s0
	global_store_dwordx2 v[30:31], v[16:17], off
	v_add_co_u32 v14, s0, v6, s4
	v_add_co_ci_u32_e64 v15, s0, s5, v7, s0
	;; [unrolled: 3-line block ×3, first 2 shown]
	global_store_dwordx2 v[8:9], v[4:5], off
	global_store_dwordx2 v[22:23], v[18:19], off
	;; [unrolled: 1-line block ×5, first 2 shown]
	s_and_b32 exec_lo, exec_lo, vcc_lo
	s_cbranch_execz .LBB0_31
; %bb.30:
	global_load_dwordx2 v[2:3], v[126:127], off offset:952
	ds_read_b64 v[4:5], v181 offset:3000
	ds_read_b64 v[6:7], v181 offset:6200
	;; [unrolled: 1-line block ×4, first 2 shown]
	v_add_co_u32 v0, vcc_lo, v0, s6
	v_add_co_ci_u32_e32 v1, vcc_lo, s7, v1, vcc_lo
	s_waitcnt vmcnt(0) lgkmcnt(3)
	v_mul_f32_e32 v12, v5, v3
	v_mul_f32_e32 v3, v4, v3
	v_fmac_f32_e32 v12, v4, v2
	v_fma_f32 v4, v2, v5, -v3
	v_cvt_f64_f32_e32 v[2:3], v12
	v_cvt_f64_f32_e32 v[4:5], v4
	v_mul_f64 v[2:3], v[2:3], s[2:3]
	v_mul_f64 v[4:5], v[4:5], s[2:3]
	v_cvt_f32_f64_e32 v2, v[2:3]
	v_cvt_f32_f64_e32 v3, v[4:5]
	global_store_dwordx2 v[0:1], v[2:3], off
	global_load_dwordx2 v[2:3], v[124:125], off offset:56
	v_add_co_u32 v0, vcc_lo, v0, s4
	v_add_co_ci_u32_e32 v1, vcc_lo, s5, v1, vcc_lo
	s_waitcnt vmcnt(0) lgkmcnt(2)
	v_mul_f32_e32 v4, v7, v3
	v_mul_f32_e32 v3, v6, v3
	v_fmac_f32_e32 v4, v6, v2
	v_fma_f32 v5, v2, v7, -v3
	v_cvt_f64_f32_e32 v[2:3], v4
	v_cvt_f64_f32_e32 v[4:5], v5
	v_mul_f64 v[2:3], v[2:3], s[2:3]
	v_mul_f64 v[4:5], v[4:5], s[2:3]
	v_cvt_f32_f64_e32 v2, v[2:3]
	v_cvt_f32_f64_e32 v3, v[4:5]
	global_store_dwordx2 v[0:1], v[2:3], off
	global_load_dwordx2 v[2:3], v[122:123], off offset:1208
	;; [unrolled: 15-line block ×3, first 2 shown]
	v_add_co_u32 v0, vcc_lo, v0, s4
	v_add_co_ci_u32_e32 v1, vcc_lo, s5, v1, vcc_lo
	s_waitcnt vmcnt(0) lgkmcnt(0)
	v_mul_f32_e32 v4, v11, v3
	v_mul_f32_e32 v3, v10, v3
	v_fmac_f32_e32 v4, v10, v2
	v_fma_f32 v5, v2, v11, -v3
	v_cvt_f64_f32_e32 v[2:3], v4
	v_cvt_f64_f32_e32 v[4:5], v5
	v_mul_f64 v[2:3], v[2:3], s[2:3]
	v_mul_f64 v[4:5], v[4:5], s[2:3]
	v_cvt_f32_f64_e32 v2, v[2:3]
	v_cvt_f32_f64_e32 v3, v[4:5]
	ds_read_b64 v[4:5], v181 offset:15800
	global_store_dwordx2 v[0:1], v[2:3], off
	global_load_dwordx2 v[2:3], v[128:129], off offset:1464
	v_add_co_u32 v0, vcc_lo, v0, s4
	v_add_co_ci_u32_e32 v1, vcc_lo, s5, v1, vcc_lo
	s_waitcnt vmcnt(0) lgkmcnt(0)
	v_mul_f32_e32 v6, v5, v3
	v_mul_f32_e32 v3, v4, v3
	v_fmac_f32_e32 v6, v4, v2
	v_fma_f32 v4, v2, v5, -v3
	v_cvt_f64_f32_e32 v[2:3], v6
	v_cvt_f64_f32_e32 v[4:5], v4
	v_mul_f64 v[2:3], v[2:3], s[2:3]
	v_mul_f64 v[4:5], v[4:5], s[2:3]
	v_cvt_f32_f64_e32 v2, v[2:3]
	v_cvt_f32_f64_e32 v3, v[4:5]
	global_store_dwordx2 v[0:1], v[2:3], off
.LBB0_31:
	s_endpgm
	.section	.rodata,"a",@progbits
	.p2align	6, 0x0
	.amdhsa_kernel bluestein_single_fwd_len2000_dim1_sp_op_CI_CI
		.amdhsa_group_segment_fixed_size 16000
		.amdhsa_private_segment_fixed_size 0
		.amdhsa_kernarg_size 104
		.amdhsa_user_sgpr_count 6
		.amdhsa_user_sgpr_private_segment_buffer 1
		.amdhsa_user_sgpr_dispatch_ptr 0
		.amdhsa_user_sgpr_queue_ptr 0
		.amdhsa_user_sgpr_kernarg_segment_ptr 1
		.amdhsa_user_sgpr_dispatch_id 0
		.amdhsa_user_sgpr_flat_scratch_init 0
		.amdhsa_user_sgpr_private_segment_size 0
		.amdhsa_wavefront_size32 1
		.amdhsa_uses_dynamic_stack 0
		.amdhsa_system_sgpr_private_segment_wavefront_offset 0
		.amdhsa_system_sgpr_workgroup_id_x 1
		.amdhsa_system_sgpr_workgroup_id_y 0
		.amdhsa_system_sgpr_workgroup_id_z 0
		.amdhsa_system_sgpr_workgroup_info 0
		.amdhsa_system_vgpr_workitem_id 0
		.amdhsa_next_free_vgpr 239
		.amdhsa_next_free_sgpr 16
		.amdhsa_reserve_vcc 1
		.amdhsa_reserve_flat_scratch 0
		.amdhsa_float_round_mode_32 0
		.amdhsa_float_round_mode_16_64 0
		.amdhsa_float_denorm_mode_32 3
		.amdhsa_float_denorm_mode_16_64 3
		.amdhsa_dx10_clamp 1
		.amdhsa_ieee_mode 1
		.amdhsa_fp16_overflow 0
		.amdhsa_workgroup_processor_mode 1
		.amdhsa_memory_ordered 1
		.amdhsa_forward_progress 0
		.amdhsa_shared_vgpr_count 0
		.amdhsa_exception_fp_ieee_invalid_op 0
		.amdhsa_exception_fp_denorm_src 0
		.amdhsa_exception_fp_ieee_div_zero 0
		.amdhsa_exception_fp_ieee_overflow 0
		.amdhsa_exception_fp_ieee_underflow 0
		.amdhsa_exception_fp_ieee_inexact 0
		.amdhsa_exception_int_div_zero 0
	.end_amdhsa_kernel
	.text
.Lfunc_end0:
	.size	bluestein_single_fwd_len2000_dim1_sp_op_CI_CI, .Lfunc_end0-bluestein_single_fwd_len2000_dim1_sp_op_CI_CI
                                        ; -- End function
	.section	.AMDGPU.csdata,"",@progbits
; Kernel info:
; codeLenInByte = 19968
; NumSgprs: 18
; NumVgprs: 239
; ScratchSize: 0
; MemoryBound: 0
; FloatMode: 240
; IeeeMode: 1
; LDSByteSize: 16000 bytes/workgroup (compile time only)
; SGPRBlocks: 2
; VGPRBlocks: 29
; NumSGPRsForWavesPerEU: 18
; NumVGPRsForWavesPerEU: 239
; Occupancy: 4
; WaveLimiterHint : 1
; COMPUTE_PGM_RSRC2:SCRATCH_EN: 0
; COMPUTE_PGM_RSRC2:USER_SGPR: 6
; COMPUTE_PGM_RSRC2:TRAP_HANDLER: 0
; COMPUTE_PGM_RSRC2:TGID_X_EN: 1
; COMPUTE_PGM_RSRC2:TGID_Y_EN: 0
; COMPUTE_PGM_RSRC2:TGID_Z_EN: 0
; COMPUTE_PGM_RSRC2:TIDIG_COMP_CNT: 0
	.text
	.p2alignl 6, 3214868480
	.fill 48, 4, 3214868480
	.type	__hip_cuid_5626c58235118c54,@object ; @__hip_cuid_5626c58235118c54
	.section	.bss,"aw",@nobits
	.globl	__hip_cuid_5626c58235118c54
__hip_cuid_5626c58235118c54:
	.byte	0                               ; 0x0
	.size	__hip_cuid_5626c58235118c54, 1

	.ident	"AMD clang version 19.0.0git (https://github.com/RadeonOpenCompute/llvm-project roc-6.4.0 25133 c7fe45cf4b819c5991fe208aaa96edf142730f1d)"
	.section	".note.GNU-stack","",@progbits
	.addrsig
	.addrsig_sym __hip_cuid_5626c58235118c54
	.amdgpu_metadata
---
amdhsa.kernels:
  - .args:
      - .actual_access:  read_only
        .address_space:  global
        .offset:         0
        .size:           8
        .value_kind:     global_buffer
      - .actual_access:  read_only
        .address_space:  global
        .offset:         8
        .size:           8
        .value_kind:     global_buffer
      - .actual_access:  read_only
        .address_space:  global
        .offset:         16
        .size:           8
        .value_kind:     global_buffer
      - .actual_access:  read_only
        .address_space:  global
        .offset:         24
        .size:           8
        .value_kind:     global_buffer
      - .actual_access:  read_only
        .address_space:  global
        .offset:         32
        .size:           8
        .value_kind:     global_buffer
      - .offset:         40
        .size:           8
        .value_kind:     by_value
      - .address_space:  global
        .offset:         48
        .size:           8
        .value_kind:     global_buffer
      - .address_space:  global
        .offset:         56
        .size:           8
        .value_kind:     global_buffer
      - .address_space:  global
        .offset:         64
        .size:           8
        .value_kind:     global_buffer
      - .address_space:  global
        .offset:         72
        .size:           8
        .value_kind:     global_buffer
      - .offset:         80
        .size:           4
        .value_kind:     by_value
      - .address_space:  global
        .offset:         88
        .size:           8
        .value_kind:     global_buffer
      - .address_space:  global
        .offset:         96
        .size:           8
        .value_kind:     global_buffer
    .group_segment_fixed_size: 16000
    .kernarg_segment_align: 8
    .kernarg_segment_size: 104
    .language:       OpenCL C
    .language_version:
      - 2
      - 0
    .max_flat_workgroup_size: 125
    .name:           bluestein_single_fwd_len2000_dim1_sp_op_CI_CI
    .private_segment_fixed_size: 0
    .sgpr_count:     18
    .sgpr_spill_count: 0
    .symbol:         bluestein_single_fwd_len2000_dim1_sp_op_CI_CI.kd
    .uniform_work_group_size: 1
    .uses_dynamic_stack: false
    .vgpr_count:     239
    .vgpr_spill_count: 0
    .wavefront_size: 32
    .workgroup_processor_mode: 1
amdhsa.target:   amdgcn-amd-amdhsa--gfx1030
amdhsa.version:
  - 1
  - 2
...

	.end_amdgpu_metadata
